;; amdgpu-corpus repo=ROCm/rocFFT kind=compiled arch=gfx1100 opt=O3
	.text
	.amdgcn_target "amdgcn-amd-amdhsa--gfx1100"
	.amdhsa_code_object_version 6
	.protected	fft_rtc_back_len3072_factors_6_4_4_4_4_2_wgs_256_tpt_256_halfLds_dp_op_CI_CI_unitstride_sbrr_C2R_dirReg ; -- Begin function fft_rtc_back_len3072_factors_6_4_4_4_4_2_wgs_256_tpt_256_halfLds_dp_op_CI_CI_unitstride_sbrr_C2R_dirReg
	.globl	fft_rtc_back_len3072_factors_6_4_4_4_4_2_wgs_256_tpt_256_halfLds_dp_op_CI_CI_unitstride_sbrr_C2R_dirReg
	.p2align	8
	.type	fft_rtc_back_len3072_factors_6_4_4_4_4_2_wgs_256_tpt_256_halfLds_dp_op_CI_CI_unitstride_sbrr_C2R_dirReg,@function
fft_rtc_back_len3072_factors_6_4_4_4_4_2_wgs_256_tpt_256_halfLds_dp_op_CI_CI_unitstride_sbrr_C2R_dirReg: ; @fft_rtc_back_len3072_factors_6_4_4_4_4_2_wgs_256_tpt_256_halfLds_dp_op_CI_CI_unitstride_sbrr_C2R_dirReg
; %bb.0:
	s_clause 0x2
	s_load_b128 s[8:11], s[0:1], 0x0
	s_load_b128 s[4:7], s[0:1], 0x58
	;; [unrolled: 1-line block ×3, first 2 shown]
	v_mov_b32_e32 v3, 0
	v_mov_b32_e32 v1, 0
	v_dual_mov_b32 v2, 0 :: v_dual_mov_b32 v9, s15
	s_delay_alu instid0(VALU_DEP_3) | instskip(SKIP_2) | instid1(VALU_DEP_1)
	v_mov_b32_e32 v10, v3
	s_waitcnt lgkmcnt(0)
	v_cmp_lt_u64_e64 s2, s[10:11], 2
	s_and_b32 vcc_lo, exec_lo, s2
	s_cbranch_vccnz .LBB0_8
; %bb.1:
	s_load_b64 s[2:3], s[0:1], 0x10
	v_mov_b32_e32 v1, 0
	v_mov_b32_e32 v2, 0
	s_add_u32 s12, s18, 8
	s_addc_u32 s13, s19, 0
	s_add_u32 s14, s16, 8
	s_addc_u32 s15, s17, 0
	v_dual_mov_b32 v6, v2 :: v_dual_mov_b32 v5, v1
	s_mov_b64 s[22:23], 1
	s_waitcnt lgkmcnt(0)
	s_add_u32 s20, s2, 8
	s_addc_u32 s21, s3, 0
.LBB0_2:                                ; =>This Inner Loop Header: Depth=1
	s_load_b64 s[24:25], s[20:21], 0x0
                                        ; implicit-def: $vgpr7_vgpr8
	s_mov_b32 s2, exec_lo
	s_waitcnt lgkmcnt(0)
	v_or_b32_e32 v4, s25, v10
	s_delay_alu instid0(VALU_DEP_1)
	v_cmpx_ne_u64_e32 0, v[3:4]
	s_xor_b32 s3, exec_lo, s2
	s_cbranch_execz .LBB0_4
; %bb.3:                                ;   in Loop: Header=BB0_2 Depth=1
	v_cvt_f32_u32_e32 v4, s24
	v_cvt_f32_u32_e32 v7, s25
	s_sub_u32 s2, 0, s24
	s_subb_u32 s26, 0, s25
	s_delay_alu instid0(VALU_DEP_1) | instskip(NEXT) | instid1(VALU_DEP_1)
	v_fmac_f32_e32 v4, 0x4f800000, v7
	v_rcp_f32_e32 v4, v4
	s_waitcnt_depctr 0xfff
	v_mul_f32_e32 v4, 0x5f7ffffc, v4
	s_delay_alu instid0(VALU_DEP_1) | instskip(NEXT) | instid1(VALU_DEP_1)
	v_mul_f32_e32 v7, 0x2f800000, v4
	v_trunc_f32_e32 v7, v7
	s_delay_alu instid0(VALU_DEP_1) | instskip(SKIP_1) | instid1(VALU_DEP_2)
	v_fmac_f32_e32 v4, 0xcf800000, v7
	v_cvt_u32_f32_e32 v7, v7
	v_cvt_u32_f32_e32 v4, v4
	s_delay_alu instid0(VALU_DEP_2) | instskip(NEXT) | instid1(VALU_DEP_2)
	v_mul_lo_u32 v8, s2, v7
	v_mul_hi_u32 v11, s2, v4
	v_mul_lo_u32 v12, s26, v4
	s_delay_alu instid0(VALU_DEP_2) | instskip(SKIP_1) | instid1(VALU_DEP_2)
	v_add_nc_u32_e32 v8, v11, v8
	v_mul_lo_u32 v11, s2, v4
	v_add_nc_u32_e32 v8, v8, v12
	s_delay_alu instid0(VALU_DEP_2) | instskip(NEXT) | instid1(VALU_DEP_2)
	v_mul_hi_u32 v12, v4, v11
	v_mul_lo_u32 v13, v4, v8
	v_mul_hi_u32 v14, v4, v8
	v_mul_hi_u32 v15, v7, v11
	v_mul_lo_u32 v11, v7, v11
	v_mul_hi_u32 v16, v7, v8
	v_mul_lo_u32 v8, v7, v8
	v_add_co_u32 v12, vcc_lo, v12, v13
	v_add_co_ci_u32_e32 v13, vcc_lo, 0, v14, vcc_lo
	s_delay_alu instid0(VALU_DEP_2) | instskip(NEXT) | instid1(VALU_DEP_2)
	v_add_co_u32 v11, vcc_lo, v12, v11
	v_add_co_ci_u32_e32 v11, vcc_lo, v13, v15, vcc_lo
	v_add_co_ci_u32_e32 v12, vcc_lo, 0, v16, vcc_lo
	s_delay_alu instid0(VALU_DEP_2) | instskip(NEXT) | instid1(VALU_DEP_2)
	v_add_co_u32 v8, vcc_lo, v11, v8
	v_add_co_ci_u32_e32 v11, vcc_lo, 0, v12, vcc_lo
	s_delay_alu instid0(VALU_DEP_2) | instskip(NEXT) | instid1(VALU_DEP_2)
	v_add_co_u32 v4, vcc_lo, v4, v8
	v_add_co_ci_u32_e32 v7, vcc_lo, v7, v11, vcc_lo
	s_delay_alu instid0(VALU_DEP_2) | instskip(SKIP_1) | instid1(VALU_DEP_3)
	v_mul_hi_u32 v8, s2, v4
	v_mul_lo_u32 v12, s26, v4
	v_mul_lo_u32 v11, s2, v7
	s_delay_alu instid0(VALU_DEP_1) | instskip(SKIP_1) | instid1(VALU_DEP_2)
	v_add_nc_u32_e32 v8, v8, v11
	v_mul_lo_u32 v11, s2, v4
	v_add_nc_u32_e32 v8, v8, v12
	s_delay_alu instid0(VALU_DEP_2) | instskip(NEXT) | instid1(VALU_DEP_2)
	v_mul_hi_u32 v12, v4, v11
	v_mul_lo_u32 v13, v4, v8
	v_mul_hi_u32 v14, v4, v8
	v_mul_hi_u32 v15, v7, v11
	v_mul_lo_u32 v11, v7, v11
	v_mul_hi_u32 v16, v7, v8
	v_mul_lo_u32 v8, v7, v8
	v_add_co_u32 v12, vcc_lo, v12, v13
	v_add_co_ci_u32_e32 v13, vcc_lo, 0, v14, vcc_lo
	s_delay_alu instid0(VALU_DEP_2) | instskip(NEXT) | instid1(VALU_DEP_2)
	v_add_co_u32 v11, vcc_lo, v12, v11
	v_add_co_ci_u32_e32 v11, vcc_lo, v13, v15, vcc_lo
	v_add_co_ci_u32_e32 v12, vcc_lo, 0, v16, vcc_lo
	s_delay_alu instid0(VALU_DEP_2) | instskip(NEXT) | instid1(VALU_DEP_2)
	v_add_co_u32 v8, vcc_lo, v11, v8
	v_add_co_ci_u32_e32 v11, vcc_lo, 0, v12, vcc_lo
	s_delay_alu instid0(VALU_DEP_2) | instskip(NEXT) | instid1(VALU_DEP_2)
	v_add_co_u32 v4, vcc_lo, v4, v8
	v_add_co_ci_u32_e32 v15, vcc_lo, v7, v11, vcc_lo
	s_delay_alu instid0(VALU_DEP_2) | instskip(SKIP_1) | instid1(VALU_DEP_3)
	v_mul_hi_u32 v16, v9, v4
	v_mad_u64_u32 v[11:12], null, v10, v4, 0
	v_mad_u64_u32 v[7:8], null, v9, v15, 0
	;; [unrolled: 1-line block ×3, first 2 shown]
	s_delay_alu instid0(VALU_DEP_2) | instskip(NEXT) | instid1(VALU_DEP_3)
	v_add_co_u32 v4, vcc_lo, v16, v7
	v_add_co_ci_u32_e32 v7, vcc_lo, 0, v8, vcc_lo
	s_delay_alu instid0(VALU_DEP_2) | instskip(NEXT) | instid1(VALU_DEP_2)
	v_add_co_u32 v4, vcc_lo, v4, v11
	v_add_co_ci_u32_e32 v4, vcc_lo, v7, v12, vcc_lo
	v_add_co_ci_u32_e32 v7, vcc_lo, 0, v14, vcc_lo
	s_delay_alu instid0(VALU_DEP_2) | instskip(NEXT) | instid1(VALU_DEP_2)
	v_add_co_u32 v4, vcc_lo, v4, v13
	v_add_co_ci_u32_e32 v11, vcc_lo, 0, v7, vcc_lo
	s_delay_alu instid0(VALU_DEP_2) | instskip(SKIP_1) | instid1(VALU_DEP_3)
	v_mul_lo_u32 v12, s25, v4
	v_mad_u64_u32 v[7:8], null, s24, v4, 0
	v_mul_lo_u32 v13, s24, v11
	s_delay_alu instid0(VALU_DEP_2) | instskip(NEXT) | instid1(VALU_DEP_2)
	v_sub_co_u32 v7, vcc_lo, v9, v7
	v_add3_u32 v8, v8, v13, v12
	s_delay_alu instid0(VALU_DEP_1) | instskip(NEXT) | instid1(VALU_DEP_1)
	v_sub_nc_u32_e32 v12, v10, v8
	v_subrev_co_ci_u32_e64 v12, s2, s25, v12, vcc_lo
	v_add_co_u32 v13, s2, v4, 2
	s_delay_alu instid0(VALU_DEP_1) | instskip(SKIP_3) | instid1(VALU_DEP_3)
	v_add_co_ci_u32_e64 v14, s2, 0, v11, s2
	v_sub_co_u32 v15, s2, v7, s24
	v_sub_co_ci_u32_e32 v8, vcc_lo, v10, v8, vcc_lo
	v_subrev_co_ci_u32_e64 v12, s2, 0, v12, s2
	v_cmp_le_u32_e32 vcc_lo, s24, v15
	s_delay_alu instid0(VALU_DEP_3) | instskip(SKIP_1) | instid1(VALU_DEP_4)
	v_cmp_eq_u32_e64 s2, s25, v8
	v_cndmask_b32_e64 v15, 0, -1, vcc_lo
	v_cmp_le_u32_e32 vcc_lo, s25, v12
	v_cndmask_b32_e64 v16, 0, -1, vcc_lo
	v_cmp_le_u32_e32 vcc_lo, s24, v7
	;; [unrolled: 2-line block ×3, first 2 shown]
	v_cndmask_b32_e64 v17, 0, -1, vcc_lo
	v_cmp_eq_u32_e32 vcc_lo, s25, v12
	s_delay_alu instid0(VALU_DEP_2) | instskip(SKIP_3) | instid1(VALU_DEP_3)
	v_cndmask_b32_e64 v7, v17, v7, s2
	v_cndmask_b32_e32 v12, v16, v15, vcc_lo
	v_add_co_u32 v15, vcc_lo, v4, 1
	v_add_co_ci_u32_e32 v16, vcc_lo, 0, v11, vcc_lo
	v_cmp_ne_u32_e32 vcc_lo, 0, v12
	s_delay_alu instid0(VALU_DEP_2) | instskip(NEXT) | instid1(VALU_DEP_4)
	v_cndmask_b32_e32 v8, v16, v14, vcc_lo
	v_cndmask_b32_e32 v12, v15, v13, vcc_lo
	v_cmp_ne_u32_e32 vcc_lo, 0, v7
	s_delay_alu instid0(VALU_DEP_3) | instskip(NEXT) | instid1(VALU_DEP_3)
	v_cndmask_b32_e32 v8, v11, v8, vcc_lo
	v_cndmask_b32_e32 v7, v4, v12, vcc_lo
.LBB0_4:                                ;   in Loop: Header=BB0_2 Depth=1
	s_and_not1_saveexec_b32 s2, s3
	s_cbranch_execz .LBB0_6
; %bb.5:                                ;   in Loop: Header=BB0_2 Depth=1
	v_cvt_f32_u32_e32 v4, s24
	s_sub_i32 s3, 0, s24
	s_delay_alu instid0(VALU_DEP_1) | instskip(SKIP_2) | instid1(VALU_DEP_1)
	v_rcp_iflag_f32_e32 v4, v4
	s_waitcnt_depctr 0xfff
	v_mul_f32_e32 v4, 0x4f7ffffe, v4
	v_cvt_u32_f32_e32 v4, v4
	s_delay_alu instid0(VALU_DEP_1) | instskip(NEXT) | instid1(VALU_DEP_1)
	v_mul_lo_u32 v7, s3, v4
	v_mul_hi_u32 v7, v4, v7
	s_delay_alu instid0(VALU_DEP_1) | instskip(NEXT) | instid1(VALU_DEP_1)
	v_add_nc_u32_e32 v4, v4, v7
	v_mul_hi_u32 v4, v9, v4
	s_delay_alu instid0(VALU_DEP_1) | instskip(SKIP_1) | instid1(VALU_DEP_2)
	v_mul_lo_u32 v7, v4, s24
	v_add_nc_u32_e32 v8, 1, v4
	v_sub_nc_u32_e32 v7, v9, v7
	s_delay_alu instid0(VALU_DEP_1) | instskip(SKIP_1) | instid1(VALU_DEP_2)
	v_subrev_nc_u32_e32 v11, s24, v7
	v_cmp_le_u32_e32 vcc_lo, s24, v7
	v_dual_cndmask_b32 v7, v7, v11 :: v_dual_cndmask_b32 v4, v4, v8
	s_delay_alu instid0(VALU_DEP_1) | instskip(NEXT) | instid1(VALU_DEP_2)
	v_cmp_le_u32_e32 vcc_lo, s24, v7
	v_add_nc_u32_e32 v8, 1, v4
	s_delay_alu instid0(VALU_DEP_1)
	v_dual_cndmask_b32 v7, v4, v8 :: v_dual_mov_b32 v8, v3
.LBB0_6:                                ;   in Loop: Header=BB0_2 Depth=1
	s_or_b32 exec_lo, exec_lo, s2
	s_delay_alu instid0(VALU_DEP_1) | instskip(NEXT) | instid1(VALU_DEP_2)
	v_mul_lo_u32 v4, v8, s24
	v_mul_lo_u32 v13, v7, s25
	s_load_b64 s[2:3], s[14:15], 0x0
	v_mad_u64_u32 v[11:12], null, v7, s24, 0
	s_load_b64 s[24:25], s[12:13], 0x0
	s_add_u32 s22, s22, 1
	s_addc_u32 s23, s23, 0
	s_add_u32 s12, s12, 8
	s_addc_u32 s13, s13, 0
	s_add_u32 s14, s14, 8
	s_delay_alu instid0(VALU_DEP_1) | instskip(SKIP_3) | instid1(VALU_DEP_2)
	v_add3_u32 v4, v12, v13, v4
	v_sub_co_u32 v13, vcc_lo, v9, v11
	s_addc_u32 s15, s15, 0
	s_add_u32 s20, s20, 8
	v_sub_co_ci_u32_e32 v4, vcc_lo, v10, v4, vcc_lo
	s_addc_u32 s21, s21, 0
	s_waitcnt lgkmcnt(0)
	s_delay_alu instid0(VALU_DEP_1)
	v_mul_lo_u32 v14, s2, v4
	v_mul_lo_u32 v15, s3, v13
	v_mad_u64_u32 v[9:10], null, s2, v13, v[1:2]
	v_mul_lo_u32 v4, s24, v4
	v_mul_lo_u32 v16, s25, v13
	v_mad_u64_u32 v[11:12], null, s24, v13, v[5:6]
	v_cmp_ge_u64_e64 s2, s[22:23], s[10:11]
	v_add3_u32 v2, v15, v10, v14
	v_mov_b32_e32 v1, v9
	s_delay_alu instid0(VALU_DEP_4)
	v_add3_u32 v6, v16, v12, v4
	v_mov_b32_e32 v5, v11
	s_and_b32 vcc_lo, exec_lo, s2
	s_cbranch_vccnz .LBB0_9
; %bb.7:                                ;   in Loop: Header=BB0_2 Depth=1
	v_dual_mov_b32 v10, v8 :: v_dual_mov_b32 v9, v7
	s_branch .LBB0_2
.LBB0_8:
	v_dual_mov_b32 v6, v2 :: v_dual_mov_b32 v5, v1
	v_dual_mov_b32 v7, v9 :: v_dual_mov_b32 v8, v10
.LBB0_9:
	s_load_b64 s[0:1], s[0:1], 0x28
	s_lshl_b64 s[10:11], s[10:11], 3
                                        ; implicit-def: $vgpr9
                                        ; implicit-def: $vgpr10_vgpr11
	s_delay_alu instid0(SALU_CYCLE_1) | instskip(SKIP_4) | instid1(VALU_DEP_1)
	s_add_u32 s2, s18, s10
	s_addc_u32 s3, s19, s11
	s_waitcnt lgkmcnt(0)
	v_cmp_gt_u64_e32 vcc_lo, s[0:1], v[7:8]
	v_cmp_le_u64_e64 s0, s[0:1], v[7:8]
	s_and_saveexec_b32 s1, s0
	s_delay_alu instid0(SALU_CYCLE_1)
	s_xor_b32 s0, exec_lo, s1
; %bb.10:
	v_mov_b32_e32 v1, 0
	v_mov_b32_e32 v9, v0
	s_delay_alu instid0(VALU_DEP_2)
	v_dual_mov_b32 v11, v1 :: v_dual_mov_b32 v10, v0
                                        ; implicit-def: $vgpr1_vgpr2
; %bb.11:
	s_or_saveexec_b32 s1, s0
	s_load_b64 s[2:3], s[2:3], 0x0
	s_xor_b32 exec_lo, exec_lo, s1
	s_cbranch_execz .LBB0_15
; %bb.12:
	s_add_u32 s10, s16, s10
	s_addc_u32 s11, s17, s11
	v_lshlrev_b64 v[1:2], 4, v[1:2]
	s_load_b64 s[10:11], s[10:11], 0x0
	v_lshlrev_b32_e32 v11, 4, v0
	s_delay_alu instid0(VALU_DEP_1)
	v_or_b32_e32 v60, 0x3000, v11
	v_or_b32_e32 v12, 0x4000, v11
	;; [unrolled: 1-line block ×5, first 2 shown]
	v_add_nc_u32_e32 v62, 0, v11
	s_waitcnt lgkmcnt(0)
	v_mul_lo_u32 v9, s11, v7
	v_mul_lo_u32 v10, s10, v8
	v_mad_u64_u32 v[3:4], null, s10, v7, 0
	s_delay_alu instid0(VALU_DEP_1) | instskip(SKIP_2) | instid1(VALU_DEP_3)
	v_add3_u32 v4, v4, v10, v9
	v_or_b32_e32 v9, 0x1000, v11
	v_or_b32_e32 v10, 0x2000, v11
	v_lshlrev_b64 v[3:4], 4, v[3:4]
	s_delay_alu instid0(VALU_DEP_1) | instskip(NEXT) | instid1(VALU_DEP_1)
	v_add_co_u32 v3, s0, s4, v3
	v_add_co_ci_u32_e64 v4, s0, s5, v4, s0
	s_mov_b32 s4, exec_lo
	s_delay_alu instid0(VALU_DEP_2) | instskip(NEXT) | instid1(VALU_DEP_1)
	v_add_co_u32 v40, s0, v3, v1
	v_add_co_ci_u32_e64 v41, s0, v4, v2, s0
	s_delay_alu instid0(VALU_DEP_2) | instskip(NEXT) | instid1(VALU_DEP_1)
	v_add_co_u32 v1, s0, v40, v11
	v_add_co_ci_u32_e64 v2, s0, 0, v41, s0
	v_add_co_u32 v3, s0, v40, v9
	s_delay_alu instid0(VALU_DEP_1) | instskip(SKIP_1) | instid1(VALU_DEP_1)
	v_add_co_ci_u32_e64 v4, s0, 0, v41, s0
	v_add_co_u32 v9, s0, v40, v10
	v_add_co_ci_u32_e64 v10, s0, 0, v41, s0
	v_add_co_u32 v24, s0, v40, v60
	s_delay_alu instid0(VALU_DEP_1) | instskip(SKIP_1) | instid1(VALU_DEP_1)
	v_add_co_ci_u32_e64 v25, s0, 0, v41, s0
	v_add_co_u32 v28, s0, v40, v12
	v_add_co_ci_u32_e64 v29, s0, 0, v41, s0
	v_add_co_u32 v32, s0, v40, v13
	s_delay_alu instid0(VALU_DEP_1)
	v_add_co_ci_u32_e64 v33, s0, 0, v41, s0
	v_add_co_u32 v36, s0, v40, v14
	s_clause 0x4
	global_load_b128 v[12:15], v[1:2], off
	global_load_b128 v[16:19], v[3:4], off
	;; [unrolled: 1-line block ×5, first 2 shown]
	v_or_b32_e32 v4, 0x7000, v11
	v_or_b32_e32 v1, 0x8000, v11
	v_add_co_ci_u32_e64 v37, s0, 0, v41, s0
	v_or_b32_e32 v2, 0x9000, v11
	s_delay_alu instid0(VALU_DEP_4) | instskip(NEXT) | instid1(VALU_DEP_1)
	v_add_co_u32 v9, s0, v40, v4
	v_add_co_ci_u32_e64 v10, s0, 0, v41, s0
	v_add_co_u32 v52, s0, v40, v1
	v_or_b32_e32 v1, 0xa000, v11
	v_add_co_ci_u32_e64 v53, s0, 0, v41, s0
	v_add_co_u32 v44, s0, v40, v2
	s_delay_alu instid0(VALU_DEP_1) | instskip(NEXT) | instid1(VALU_DEP_4)
	v_add_co_ci_u32_e64 v45, s0, 0, v41, s0
	v_add_co_u32 v48, s0, v40, v1
	s_delay_alu instid0(VALU_DEP_1) | instskip(SKIP_1) | instid1(VALU_DEP_1)
	v_add_co_ci_u32_e64 v49, s0, 0, v41, s0
	v_add_co_u32 v2, s0, v40, v61
	v_add_co_ci_u32_e64 v3, s0, 0, v41, s0
	s_clause 0x6
	global_load_b128 v[32:35], v[32:33], off
	global_load_b128 v[36:39], v[36:37], off
	;; [unrolled: 1-line block ×7, first 2 shown]
	v_mov_b32_e32 v1, 0
	v_dual_mov_b32 v9, v0 :: v_dual_add_nc_u32 v60, 0, v60
	s_delay_alu instid0(VALU_DEP_2)
	v_dual_mov_b32 v11, v1 :: v_dual_add_nc_u32 v4, 0, v4
	v_dual_mov_b32 v10, v0 :: v_dual_add_nc_u32 v1, 0, v61
	s_waitcnt vmcnt(11)
	ds_store_b128 v62, v[12:15]
	s_waitcnt vmcnt(10)
	ds_store_b128 v62, v[16:19] offset:4096
	s_waitcnt vmcnt(9)
	ds_store_b128 v62, v[20:23] offset:8192
	;; [unrolled: 2-line block ×5, first 2 shown]
	ds_store_b128 v60, v[24:27]
	s_waitcnt vmcnt(4)
	ds_store_b128 v4, v[40:43]
	s_waitcnt vmcnt(3)
	ds_store_b128 v62, v[44:47] offset:36864
	s_waitcnt vmcnt(2)
	ds_store_b128 v62, v[48:51] offset:40960
	;; [unrolled: 2-line block ×3, first 2 shown]
	s_waitcnt vmcnt(0)
	ds_store_b128 v1, v[56:59]
	v_cmpx_eq_u32_e32 0xff, v0
	s_cbranch_execz .LBB0_14
; %bb.13:
	global_load_b128 v[12:15], v[2:3], off offset:16
	v_dual_mov_b32 v10, 0xff :: v_dual_mov_b32 v9, 0xff
	v_mov_b32_e32 v11, 0
	s_waitcnt vmcnt(0)
	ds_store_b128 v1, v[12:15] offset:16
.LBB0_14:
	s_or_b32 exec_lo, exec_lo, s4
.LBB0_15:
	s_delay_alu instid0(SALU_CYCLE_1)
	s_or_b32 exec_lo, exec_lo, s1
	v_lshlrev_b32_e32 v1, 4, v9
	s_waitcnt lgkmcnt(0)
	s_barrier
	buffer_gl0_inv
	v_lshlrev_b64 v[13:14], 4, v[10:11]
	v_add_nc_u32_e32 v21, 0, v1
	v_sub_nc_u32_e32 v22, 0, v1
	s_add_u32 s4, s8, 0xbfa0
	s_addc_u32 s5, s9, 0
	s_mov_b32 s1, exec_lo
	ds_load_b64 v[15:16], v21
	ds_load_b64 v[17:18], v22 offset:49152
	s_waitcnt lgkmcnt(0)
	v_add_f64 v[1:2], v[15:16], v[17:18]
	v_add_f64 v[3:4], v[15:16], -v[17:18]
	v_cmpx_ne_u32_e32 0, v9
	s_xor_b32 s1, exec_lo, s1
	s_cbranch_execz .LBB0_17
; %bb.16:
	v_add_co_u32 v1, s0, s4, v13
	s_delay_alu instid0(VALU_DEP_1)
	v_add_co_ci_u32_e64 v2, s0, s5, v14, s0
	v_add_f64 v[10:11], v[15:16], v[17:18]
	v_add_f64 v[19:20], v[15:16], -v[17:18]
	global_load_b128 v[23:26], v[1:2], off
	ds_load_b64 v[1:2], v22 offset:49160
	ds_load_b64 v[3:4], v21 offset:8
	s_waitcnt lgkmcnt(0)
	v_add_f64 v[15:16], v[1:2], v[3:4]
	v_add_f64 v[1:2], v[3:4], -v[1:2]
	s_waitcnt vmcnt(0)
	v_fma_f64 v[3:4], v[19:20], v[25:26], v[10:11]
	v_fma_f64 v[10:11], -v[19:20], v[25:26], v[10:11]
	s_delay_alu instid0(VALU_DEP_3) | instskip(SKIP_1) | instid1(VALU_DEP_4)
	v_fma_f64 v[17:18], v[15:16], v[25:26], -v[1:2]
	v_fma_f64 v[25:26], v[15:16], v[25:26], v[1:2]
	v_fma_f64 v[1:2], -v[15:16], v[23:24], v[3:4]
	s_delay_alu instid0(VALU_DEP_4) | instskip(NEXT) | instid1(VALU_DEP_4)
	v_fma_f64 v[15:16], v[15:16], v[23:24], v[10:11]
	v_fma_f64 v[17:18], v[19:20], v[23:24], v[17:18]
	s_delay_alu instid0(VALU_DEP_4)
	v_fma_f64 v[3:4], v[19:20], v[23:24], v[25:26]
	ds_store_b128 v22, v[15:18] offset:49152
.LBB0_17:
	s_and_not1_saveexec_b32 s0, s1
	s_cbranch_execz .LBB0_19
; %bb.18:
	v_mov_b32_e32 v10, 0
	ds_load_b128 v[15:18], v10 offset:24576
	s_waitcnt lgkmcnt(0)
	v_add_f64 v[15:16], v[15:16], v[15:16]
	v_mul_f64 v[17:18], v[17:18], -2.0
	ds_store_b128 v10, v[15:18] offset:24576
.LBB0_19:
	s_or_b32 exec_lo, exec_lo, s0
	v_or_b32_e32 v11, 0x100, v9
	v_mov_b32_e32 v12, 0
	v_or_b32_e32 v19, 0x200, v9
	ds_store_b128 v21, v[1:4]
	v_lshlrev_b64 v[15:16], 4, v[11:12]
	v_mov_b32_e32 v20, v12
	s_delay_alu instid0(VALU_DEP_2) | instskip(NEXT) | instid1(VALU_DEP_1)
	v_add_co_u32 v17, s0, s4, v15
	v_add_co_ci_u32_e64 v18, s0, s5, v16, s0
	global_load_b128 v[23:26], v[17:18], off
	v_lshlrev_b64 v[17:18], 4, v[19:20]
	v_lshl_or_b32 v20, v0, 4, 0x3000
	s_delay_alu instid0(VALU_DEP_1) | instskip(NEXT) | instid1(VALU_DEP_3)
	v_add_nc_u32_e32 v10, 0, v20
	v_add_co_u32 v27, s0, s4, v17
	s_delay_alu instid0(VALU_DEP_1)
	v_add_co_ci_u32_e64 v28, s0, s5, v18, s0
	global_load_b128 v[27:30], v[27:28], off
	ds_load_b128 v[1:4], v21 offset:4096
	ds_load_b128 v[31:34], v22 offset:45056
	global_load_b128 v[35:38], v20, s[4:5]
	s_waitcnt lgkmcnt(0)
	v_add_f64 v[39:40], v[1:2], v[31:32]
	v_add_f64 v[41:42], v[33:34], v[3:4]
	v_add_f64 v[43:44], v[1:2], -v[31:32]
	v_add_f64 v[1:2], v[3:4], -v[33:34]
	s_waitcnt vmcnt(2)
	s_delay_alu instid0(VALU_DEP_2) | instskip(NEXT) | instid1(VALU_DEP_2)
	v_fma_f64 v[3:4], v[43:44], v[25:26], v[39:40]
	v_fma_f64 v[31:32], v[41:42], v[25:26], v[1:2]
	v_fma_f64 v[33:34], -v[43:44], v[25:26], v[39:40]
	v_fma_f64 v[25:26], v[41:42], v[25:26], -v[1:2]
	v_or_b32_e32 v39, 0x400, v9
	v_mov_b32_e32 v40, v12
	v_fma_f64 v[1:2], -v[41:42], v[23:24], v[3:4]
	v_fma_f64 v[3:4], v[43:44], v[23:24], v[31:32]
	v_fma_f64 v[31:32], v[41:42], v[23:24], v[33:34]
	v_fma_f64 v[33:34], v[43:44], v[23:24], v[25:26]
	ds_store_b128 v21, v[1:4] offset:4096
	ds_store_b128 v22, v[31:34] offset:45056
	v_lshlrev_b64 v[1:2], 4, v[39:40]
	ds_load_b128 v[23:26], v21 offset:8192
	ds_load_b128 v[31:34], v22 offset:40960
	v_add_co_u32 v3, s0, s4, v1
	s_delay_alu instid0(VALU_DEP_1)
	v_add_co_ci_u32_e64 v4, s0, s5, v2, s0
	global_load_b128 v[39:42], v[3:4], off
	s_waitcnt lgkmcnt(0)
	v_add_f64 v[3:4], v[23:24], v[31:32]
	v_add_f64 v[43:44], v[33:34], v[25:26]
	v_add_f64 v[31:32], v[23:24], -v[31:32]
	v_add_f64 v[23:24], v[25:26], -v[33:34]
	s_waitcnt vmcnt(2)
	s_delay_alu instid0(VALU_DEP_2) | instskip(NEXT) | instid1(VALU_DEP_2)
	v_fma_f64 v[25:26], v[31:32], v[29:30], v[3:4]
	v_fma_f64 v[33:34], v[43:44], v[29:30], v[23:24]
	v_fma_f64 v[3:4], -v[31:32], v[29:30], v[3:4]
	v_fma_f64 v[45:46], v[43:44], v[29:30], -v[23:24]
	s_delay_alu instid0(VALU_DEP_4) | instskip(NEXT) | instid1(VALU_DEP_4)
	v_fma_f64 v[23:24], -v[43:44], v[27:28], v[25:26]
	v_fma_f64 v[25:26], v[31:32], v[27:28], v[33:34]
	s_delay_alu instid0(VALU_DEP_4) | instskip(NEXT) | instid1(VALU_DEP_4)
	v_fma_f64 v[29:30], v[43:44], v[27:28], v[3:4]
	v_fma_f64 v[31:32], v[31:32], v[27:28], v[45:46]
	v_or_b32_e32 v3, 0x500, v9
	v_mov_b32_e32 v4, v12
	ds_store_b128 v21, v[23:26] offset:8192
	ds_store_b128 v22, v[29:32] offset:40960
	v_lshlrev_b64 v[3:4], 4, v[3:4]
	ds_load_b128 v[23:26], v10
	ds_load_b128 v[27:30], v22 offset:36864
	v_add_co_u32 v31, s0, s4, v3
	s_delay_alu instid0(VALU_DEP_1)
	v_add_co_ci_u32_e64 v32, s0, s5, v4, s0
	s_mov_b32 s0, 0xe8584caa
	s_mov_b32 s1, 0xbfebb67a
	;; [unrolled: 1-line block ×3, first 2 shown]
	global_load_b128 v[31:34], v[31:32], off
	s_mov_b32 s4, s0
	s_waitcnt lgkmcnt(0)
	v_add_f64 v[43:44], v[23:24], v[27:28]
	v_add_f64 v[45:46], v[29:30], v[25:26]
	v_add_f64 v[47:48], v[23:24], -v[27:28]
	v_add_f64 v[23:24], v[25:26], -v[29:30]
	s_waitcnt vmcnt(2)
	s_delay_alu instid0(VALU_DEP_2) | instskip(NEXT) | instid1(VALU_DEP_2)
	v_fma_f64 v[25:26], v[47:48], v[37:38], v[43:44]
	v_fma_f64 v[27:28], v[45:46], v[37:38], v[23:24]
	v_fma_f64 v[29:30], -v[47:48], v[37:38], v[43:44]
	v_fma_f64 v[37:38], v[45:46], v[37:38], -v[23:24]
	s_delay_alu instid0(VALU_DEP_4) | instskip(NEXT) | instid1(VALU_DEP_4)
	v_fma_f64 v[23:24], -v[45:46], v[35:36], v[25:26]
	v_fma_f64 v[25:26], v[47:48], v[35:36], v[27:28]
	s_delay_alu instid0(VALU_DEP_4) | instskip(NEXT) | instid1(VALU_DEP_4)
	v_fma_f64 v[27:28], v[45:46], v[35:36], v[29:30]
	v_fma_f64 v[29:30], v[47:48], v[35:36], v[37:38]
	ds_store_b128 v10, v[23:26]
	ds_store_b128 v22, v[27:30] offset:36864
	ds_load_b128 v[23:26], v21 offset:16384
	ds_load_b128 v[27:30], v22 offset:32768
	s_waitcnt lgkmcnt(0)
	v_add_f64 v[35:36], v[23:24], v[27:28]
	v_add_f64 v[37:38], v[29:30], v[25:26]
	v_add_f64 v[43:44], v[23:24], -v[27:28]
	v_add_f64 v[23:24], v[25:26], -v[29:30]
	s_waitcnt vmcnt(1)
	s_delay_alu instid0(VALU_DEP_2) | instskip(NEXT) | instid1(VALU_DEP_2)
	v_fma_f64 v[25:26], v[43:44], v[41:42], v[35:36]
	v_fma_f64 v[27:28], v[37:38], v[41:42], v[23:24]
	v_fma_f64 v[29:30], -v[43:44], v[41:42], v[35:36]
	v_fma_f64 v[35:36], v[37:38], v[41:42], -v[23:24]
	s_delay_alu instid0(VALU_DEP_4) | instskip(NEXT) | instid1(VALU_DEP_4)
	v_fma_f64 v[23:24], -v[37:38], v[39:40], v[25:26]
	v_fma_f64 v[25:26], v[43:44], v[39:40], v[27:28]
	s_delay_alu instid0(VALU_DEP_4) | instskip(NEXT) | instid1(VALU_DEP_4)
	v_fma_f64 v[27:28], v[37:38], v[39:40], v[29:30]
	v_fma_f64 v[29:30], v[43:44], v[39:40], v[35:36]
	ds_store_b128 v21, v[23:26] offset:16384
	ds_store_b128 v22, v[27:30] offset:32768
	ds_load_b128 v[23:26], v21 offset:20480
	ds_load_b128 v[27:30], v22 offset:28672
	s_waitcnt lgkmcnt(0)
	v_add_f64 v[35:36], v[23:24], v[27:28]
	v_add_f64 v[37:38], v[29:30], v[25:26]
	v_add_f64 v[39:40], v[23:24], -v[27:28]
	v_add_f64 v[23:24], v[25:26], -v[29:30]
	s_waitcnt vmcnt(0)
	s_delay_alu instid0(VALU_DEP_2) | instskip(NEXT) | instid1(VALU_DEP_2)
	v_fma_f64 v[25:26], v[39:40], v[33:34], v[35:36]
	v_fma_f64 v[27:28], v[37:38], v[33:34], v[23:24]
	v_fma_f64 v[29:30], -v[39:40], v[33:34], v[35:36]
	v_fma_f64 v[33:34], v[37:38], v[33:34], -v[23:24]
	s_delay_alu instid0(VALU_DEP_4) | instskip(NEXT) | instid1(VALU_DEP_4)
	v_fma_f64 v[23:24], -v[37:38], v[31:32], v[25:26]
	v_fma_f64 v[25:26], v[39:40], v[31:32], v[27:28]
	s_delay_alu instid0(VALU_DEP_4) | instskip(NEXT) | instid1(VALU_DEP_4)
	v_fma_f64 v[27:28], v[37:38], v[31:32], v[29:30]
	v_fma_f64 v[29:30], v[39:40], v[31:32], v[33:34]
	ds_store_b128 v21, v[23:26] offset:20480
	ds_store_b128 v22, v[27:30] offset:28672
	s_waitcnt lgkmcnt(0)
	s_barrier
	buffer_gl0_inv
	s_barrier
	buffer_gl0_inv
	ds_load_b128 v[22:25], v21 offset:40960
	ds_load_b128 v[26:29], v21 offset:24576
	;; [unrolled: 1-line block ×6, first 2 shown]
	s_waitcnt lgkmcnt(4)
	v_add_f64 v[46:47], v[28:29], v[24:25]
	v_add_f64 v[70:71], v[26:27], v[22:23]
	s_waitcnt lgkmcnt(2)
	v_add_f64 v[50:51], v[32:33], v[36:37]
	v_add_f64 v[72:73], v[26:27], -v[22:23]
	v_add_f64 v[76:77], v[30:31], v[34:35]
	v_add_f64 v[78:79], v[30:31], -v[34:35]
	s_waitcnt lgkmcnt(1)
	v_add_f64 v[26:27], v[38:39], v[26:27]
	v_add_f64 v[88:89], v[28:29], -v[24:25]
	v_add_f64 v[28:29], v[40:41], v[28:29]
	s_waitcnt lgkmcnt(0)
	v_add_f64 v[30:31], v[42:43], v[30:31]
	v_fma_f64 v[74:75], v[46:47], -0.5, v[40:41]
	ds_load_b128 v[46:49], v21
	v_fma_f64 v[80:81], v[50:51], -0.5, v[44:45]
	ds_load_b128 v[50:53], v21 offset:16384
	ds_load_b128 v[54:57], v21 offset:32768
	;; [unrolled: 1-line block ×4, first 2 shown]
	v_fma_f64 v[38:39], v[70:71], -0.5, v[38:39]
	v_fma_f64 v[42:43], v[76:77], -0.5, v[42:43]
	v_add_f64 v[44:45], v[44:45], v[32:33]
	v_add_f64 v[32:33], v[32:33], -v[36:37]
	ds_load_b128 v[66:69], v21 offset:4096
	v_add_f64 v[26:27], v[26:27], v[22:23]
	v_add_f64 v[23:24], v[28:29], v[24:25]
	v_mul_lo_u16 v22, 0xab, v0
	s_waitcnt lgkmcnt(0)
	s_barrier
	buffer_gl0_inv
	v_lshrrev_b16 v25, 10, v22
	v_add_f64 v[82:83], v[46:47], v[50:51]
	v_add_f64 v[84:85], v[48:49], v[52:53]
	;; [unrolled: 1-line block ×5, first 2 shown]
	v_add_f64 v[52:53], v[52:53], -v[56:57]
	v_add_f64 v[50:51], v[50:51], -v[54:55]
	v_fma_f64 v[90:91], v[72:73], s[4:5], v[74:75]
	v_fma_f64 v[72:73], v[72:73], s[0:1], v[74:75]
	v_add_f64 v[74:75], v[60:61], v[64:65]
	v_fma_f64 v[76:77], v[78:79], s[4:5], v[80:81]
	v_fma_f64 v[78:79], v[78:79], s[0:1], v[80:81]
	v_add_f64 v[80:81], v[66:67], v[58:59]
	v_add_f64 v[58:59], v[58:59], -v[62:63]
	v_add_f64 v[44:45], v[44:45], v[36:37]
	v_add_f64 v[54:55], v[82:83], v[54:55]
	;; [unrolled: 1-line block ×4, first 2 shown]
	v_fma_f64 v[46:47], v[86:87], -0.5, v[46:47]
	v_fma_f64 v[40:41], v[40:41], -0.5, v[48:49]
	v_fma_f64 v[48:49], v[88:89], s[0:1], v[38:39]
	v_fma_f64 v[38:39], v[88:89], s[4:5], v[38:39]
	v_add_f64 v[60:61], v[60:61], -v[64:65]
	v_fma_f64 v[66:67], v[70:71], -0.5, v[66:67]
	v_fma_f64 v[70:71], v[32:33], s[0:1], v[42:43]
	v_fma_f64 v[32:33], v[32:33], s[4:5], v[42:43]
	v_mul_f64 v[84:85], v[90:91], s[0:1]
	v_mul_f64 v[86:87], v[72:73], s[0:1]
	v_mul_f64 v[88:89], v[90:91], 0.5
	v_mul_f64 v[72:73], v[72:73], -0.5
	v_fma_f64 v[68:69], v[74:75], -0.5, v[68:69]
	v_mul_f64 v[42:43], v[76:77], s[0:1]
	v_mul_f64 v[76:77], v[76:77], 0.5
	v_mul_f64 v[74:75], v[78:79], s[0:1]
	v_mul_f64 v[78:79], v[78:79], -0.5
	v_add_f64 v[62:63], v[80:81], v[62:63]
	v_add_f64 v[80:81], v[30:31], v[34:35]
	;; [unrolled: 1-line block ×5, first 2 shown]
	v_fma_f64 v[82:83], v[52:53], s[0:1], v[46:47]
	v_fma_f64 v[90:91], v[52:53], s[4:5], v[46:47]
	;; [unrolled: 1-line block ×4, first 2 shown]
	v_add_f64 v[34:35], v[56:57], -v[23:24]
	v_fma_f64 v[96:97], v[60:61], s[4:5], v[66:67]
	v_mul_lo_u16 v23, v25, 6
	v_and_b32_e32 v25, 0xffff, v25
	v_mad_u32_u24 v24, 0x50, v9, v21
	s_delay_alu instid0(VALU_DEP_3)
	v_sub_nc_u16 v23, v0, v23
	v_fma_f64 v[52:53], v[48:49], 0.5, v[84:85]
	v_fma_f64 v[84:85], v[38:39], -0.5, v[86:87]
	v_fma_f64 v[86:87], v[48:49], s[4:5], v[88:89]
	v_fma_f64 v[72:73], v[38:39], s[4:5], v[72:73]
	;; [unrolled: 1-line block ×5, first 2 shown]
	v_fma_f64 v[68:69], v[70:71], 0.5, v[42:43]
	v_fma_f64 v[70:71], v[70:71], s[4:5], v[76:77]
	v_fma_f64 v[74:75], v[32:33], -0.5, v[74:75]
	v_fma_f64 v[76:77], v[32:33], s[4:5], v[78:79]
	v_add_f64 v[32:33], v[54:55], -v[26:27]
	v_add_f64 v[36:37], v[62:63], v[80:81]
	v_add_f64 v[40:41], v[62:63], -v[80:81]
	v_and_b32_e32 v27, 0xff, v23
	v_and_b32_e32 v26, 0xffff, v19
	s_delay_alu instid0(VALU_DEP_2) | instskip(SKIP_2) | instid1(VALU_DEP_3)
	v_mul_u32_u24_e32 v23, 3, v27
	v_add_f64 v[38:39], v[64:65], v[44:45]
	v_add_f64 v[42:43], v[64:65], -v[44:45]
	v_lshlrev_b32_e32 v23, 4, v23
	v_add_f64 v[44:45], v[82:83], v[52:53]
	v_add_f64 v[48:49], v[90:91], v[84:85]
	;; [unrolled: 1-line block ×4, first 2 shown]
	v_add_f64 v[52:53], v[82:83], -v[52:53]
	v_add_f64 v[54:55], v[92:93], -v[86:87]
	;; [unrolled: 1-line block ×4, first 2 shown]
	v_add_f64 v[60:61], v[88:89], v[68:69]
	v_add_f64 v[62:63], v[98:99], v[70:71]
	;; [unrolled: 1-line block ×4, first 2 shown]
	v_add_f64 v[68:69], v[88:89], -v[68:69]
	v_add_f64 v[70:71], v[98:99], -v[70:71]
	;; [unrolled: 1-line block ×4, first 2 shown]
	ds_store_b128 v24, v[28:31]
	ds_store_b128 v24, v[44:47] offset:16
	ds_store_b128 v24, v[48:51] offset:32
	;; [unrolled: 1-line block ×11, first 2 shown]
	s_waitcnt lgkmcnt(0)
	s_barrier
	buffer_gl0_inv
	s_clause 0x2
	global_load_b128 v[28:31], v23, s[8:9]
	global_load_b128 v[32:35], v23, s[8:9] offset:16
	global_load_b128 v[36:39], v23, s[8:9] offset:32
	v_and_b32_e32 v23, 0xffff, v11
	s_delay_alu instid0(VALU_DEP_1) | instskip(NEXT) | instid1(VALU_DEP_1)
	v_mul_u32_u24_e32 v23, 0xaaab, v23
	v_lshrrev_b32_e32 v90, 18, v23
	s_delay_alu instid0(VALU_DEP_1) | instskip(NEXT) | instid1(VALU_DEP_1)
	v_mul_lo_u16 v24, v90, 6
	v_sub_nc_u16 v91, v11, v24
	s_delay_alu instid0(VALU_DEP_1) | instskip(NEXT) | instid1(VALU_DEP_1)
	v_mul_lo_u16 v24, v91, 3
	v_and_b32_e32 v24, 0xffff, v24
	s_delay_alu instid0(VALU_DEP_1)
	v_lshlrev_b32_e32 v24, 4, v24
	s_clause 0x2
	global_load_b128 v[40:43], v24, s[8:9]
	global_load_b128 v[44:47], v24, s[8:9] offset:16
	global_load_b128 v[48:51], v24, s[8:9] offset:32
	v_mul_u32_u24_e32 v24, 0xaaab, v26
	s_delay_alu instid0(VALU_DEP_1) | instskip(NEXT) | instid1(VALU_DEP_1)
	v_lshrrev_b32_e32 v92, 18, v24
	v_mul_lo_u16 v26, v92, 6
	s_delay_alu instid0(VALU_DEP_1) | instskip(NEXT) | instid1(VALU_DEP_1)
	v_sub_nc_u16 v93, v19, v26
	v_mul_lo_u16 v26, v93, 3
	s_delay_alu instid0(VALU_DEP_1) | instskip(NEXT) | instid1(VALU_DEP_1)
	v_and_b32_e32 v26, 0xffff, v26
	v_lshlrev_b32_e32 v26, 4, v26
	s_clause 0x2
	global_load_b128 v[52:55], v26, s[8:9]
	global_load_b128 v[56:59], v26, s[8:9] offset:16
	global_load_b128 v[60:63], v26, s[8:9] offset:32
	ds_load_b128 v[64:67], v10
	ds_load_b128 v[68:71], v21 offset:28672
	ds_load_b128 v[72:75], v21 offset:24576
	;; [unrolled: 1-line block ×3, first 2 shown]
	v_lshrrev_b16 v26, 12, v22
	v_lshrrev_b16 v22, 14, v22
	s_waitcnt vmcnt(8) lgkmcnt(3)
	v_mul_f64 v[80:81], v[66:67], v[30:31]
	v_mul_f64 v[30:31], v[64:65], v[30:31]
	s_waitcnt vmcnt(7) lgkmcnt(1)
	v_mul_f64 v[82:83], v[74:75], v[34:35]
	v_mul_f64 v[34:35], v[72:73], v[34:35]
	s_delay_alu instid0(VALU_DEP_4) | instskip(NEXT) | instid1(VALU_DEP_4)
	v_fma_f64 v[80:81], v[64:65], v[28:29], v[80:81]
	v_fma_f64 v[84:85], v[66:67], v[28:29], -v[30:31]
	ds_load_b128 v[28:31], v21 offset:36864
	ds_load_b128 v[64:67], v21 offset:32768
	v_fma_f64 v[72:73], v[72:73], v[32:33], v[82:83]
	v_fma_f64 v[74:75], v[74:75], v[32:33], -v[34:35]
	ds_load_b128 v[32:35], v21 offset:16384
	s_waitcnt vmcnt(6) lgkmcnt(2)
	v_mul_f64 v[86:87], v[30:31], v[38:39]
	v_mul_f64 v[38:39], v[28:29], v[38:39]
	s_delay_alu instid0(VALU_DEP_2) | instskip(NEXT) | instid1(VALU_DEP_2)
	v_fma_f64 v[82:83], v[28:29], v[36:37], v[86:87]
	v_fma_f64 v[86:87], v[30:31], v[36:37], -v[38:39]
	ds_load_b128 v[28:31], v21 offset:8192
	s_waitcnt vmcnt(5) lgkmcnt(1)
	v_mul_f64 v[36:37], v[34:35], v[42:43]
	v_mul_f64 v[38:39], v[32:33], v[42:43]
	s_waitcnt vmcnt(4)
	v_mul_f64 v[42:43], v[70:71], v[46:47]
	s_delay_alu instid0(VALU_DEP_3) | instskip(SKIP_1) | instid1(VALU_DEP_4)
	v_fma_f64 v[88:89], v[32:33], v[40:41], v[36:37]
	v_mul_f64 v[36:37], v[68:69], v[46:47]
	v_fma_f64 v[40:41], v[34:35], v[40:41], -v[38:39]
	ds_load_b128 v[32:35], v21 offset:40960
	v_fma_f64 v[42:43], v[68:69], v[44:45], v[42:43]
	s_waitcnt vmcnt(2)
	v_mul_f64 v[68:69], v[78:79], v[54:55]
	v_fma_f64 v[44:45], v[70:71], v[44:45], -v[36:37]
	ds_load_b128 v[36:39], v21 offset:45056
	s_waitcnt lgkmcnt(1)
	v_mul_f64 v[46:47], v[34:35], v[50:51]
	v_mul_f64 v[50:51], v[32:33], v[50:51]
	s_delay_alu instid0(VALU_DEP_2) | instskip(SKIP_1) | instid1(VALU_DEP_3)
	v_fma_f64 v[46:47], v[32:33], v[48:49], v[46:47]
	v_mul_f64 v[32:33], v[76:77], v[54:55]
	v_fma_f64 v[48:49], v[34:35], v[48:49], -v[50:51]
	s_waitcnt vmcnt(1)
	v_mul_f64 v[34:35], v[66:67], v[58:59]
	v_mul_f64 v[50:51], v[64:65], v[58:59]
	s_waitcnt vmcnt(0) lgkmcnt(0)
	v_mul_f64 v[54:55], v[38:39], v[62:63]
	v_fma_f64 v[58:59], v[76:77], v[52:53], v[68:69]
	v_add_f64 v[68:69], v[84:85], -v[86:87]
	v_fma_f64 v[52:53], v[78:79], v[52:53], -v[32:33]
	v_mul_f64 v[32:33], v[36:37], v[62:63]
	v_fma_f64 v[62:63], v[64:65], v[56:57], v[34:35]
	v_fma_f64 v[50:51], v[66:67], v[56:57], -v[50:51]
	v_fma_f64 v[54:55], v[36:37], v[60:61], v[54:55]
	v_add_f64 v[66:67], v[80:81], -v[82:83]
	v_fma_f64 v[56:57], v[38:39], v[60:61], -v[32:33]
	ds_load_b128 v[32:35], v21
	ds_load_b128 v[36:39], v21 offset:4096
	v_add_f64 v[76:77], v[30:31], -v[50:51]
	v_fma_f64 v[50:51], v[84:85], 2.0, -v[68:69]
	s_waitcnt lgkmcnt(0)
	s_barrier
	buffer_gl0_inv
	v_add_f64 v[60:61], v[32:33], -v[72:73]
	v_add_f64 v[64:65], v[34:35], -v[74:75]
	;; [unrolled: 1-line block ×9, first 2 shown]
	v_fma_f64 v[86:87], v[30:31], 2.0, -v[76:77]
	v_fma_f64 v[62:63], v[32:33], 2.0, -v[60:61]
	;; [unrolled: 1-line block ×10, first 2 shown]
	v_add_f64 v[28:29], v[60:61], v[68:69]
	v_add_f64 v[30:31], v[64:65], -v[66:67]
	v_add_f64 v[32:33], v[70:71], v[42:43]
	v_add_f64 v[46:47], v[76:77], -v[46:47]
	v_lshrrev_b32_e32 v89, 20, v23
	v_fma_f64 v[52:53], v[52:53], 2.0, -v[48:49]
	v_add_f64 v[38:39], v[78:79], -v[50:51]
	v_add_f64 v[36:37], v[62:63], -v[34:35]
	;; [unrolled: 1-line block ×3, first 2 shown]
	v_add_f64 v[44:45], v[74:75], v[48:49]
	v_add_f64 v[40:41], v[80:81], -v[54:55]
	v_add_f64 v[42:43], v[82:83], -v[56:57]
	;; [unrolled: 1-line block ×3, first 2 shown]
	v_fma_f64 v[54:55], v[64:65], 2.0, -v[30:31]
	v_fma_f64 v[56:57], v[70:71], 2.0, -v[32:33]
	;; [unrolled: 1-line block ×3, first 2 shown]
	v_mul_lo_u16 v76, v26, 24
	v_mul_lo_u16 v77, v90, 24
	v_and_b32_e32 v26, 0xffff, v26
	v_add_f64 v[50:51], v[86:87], -v[52:53]
	v_fma_f64 v[52:53], v[60:61], 2.0, -v[28:29]
	v_sub_nc_u16 v76, v0, v76
	s_delay_alu instid0(VALU_DEP_4)
	v_mul_u32_u24_e32 v26, 0x60, v26
	v_fma_f64 v[60:61], v[62:63], 2.0, -v[36:37]
	v_fma_f64 v[62:63], v[78:79], 2.0, -v[38:39]
	;; [unrolled: 1-line block ×7, first 2 shown]
	v_mul_lo_u16 v78, v92, 24
	v_mul_u32_u24_e32 v79, 24, v25
	v_and_b32_e32 v25, 0xff, v76
	v_or_b32_e32 v76, v77, v91
	v_lshrrev_b32_e32 v91, 20, v24
	v_or_b32_e32 v77, v78, v93
	v_or_b32_e32 v27, v79, v27
	v_mul_u32_u24_e32 v78, 3, v25
	v_and_b32_e32 v76, 0xffff, v76
	v_fma_f64 v[74:75], v[86:87], 2.0, -v[50:51]
	v_and_b32_e32 v77, 0xffff, v77
	v_lshl_add_u32 v27, v27, 4, 0
	v_lshlrev_b32_e32 v78, 4, v78
	v_lshl_add_u32 v76, v76, 4, 0
	v_or_b32_e32 v25, v26, v25
	v_lshl_add_u32 v77, v77, 4, 0
	ds_store_b128 v27, v[36:39] offset:192
	ds_store_b128 v27, v[28:31] offset:288
	ds_store_b128 v27, v[60:63]
	ds_store_b128 v27, v[52:55] offset:96
	ds_store_b128 v76, v[64:67]
	ds_store_b128 v76, v[56:59] offset:96
	ds_store_b128 v76, v[40:43] offset:192
	;; [unrolled: 1-line block ×3, first 2 shown]
	ds_store_b128 v77, v[72:75]
	ds_store_b128 v77, v[68:71] offset:96
	ds_store_b128 v77, v[48:51] offset:192
	;; [unrolled: 1-line block ×3, first 2 shown]
	s_waitcnt lgkmcnt(0)
	s_barrier
	buffer_gl0_inv
	s_clause 0x2
	global_load_b128 v[27:30], v78, s[8:9] offset:288
	global_load_b128 v[31:34], v78, s[8:9] offset:304
	;; [unrolled: 1-line block ×3, first 2 shown]
	v_mul_lo_u16 v39, v89, 24
	v_mul_lo_u16 v51, v91, 24
	v_lshl_add_u32 v25, v25, 4, 0
	s_delay_alu instid0(VALU_DEP_3) | instskip(NEXT) | instid1(VALU_DEP_3)
	v_sub_nc_u16 v90, v11, v39
	v_sub_nc_u16 v92, v19, v51
	s_delay_alu instid0(VALU_DEP_2) | instskip(NEXT) | instid1(VALU_DEP_2)
	v_mul_lo_u16 v39, v90, 3
	v_mul_lo_u16 v51, v92, 3
	s_delay_alu instid0(VALU_DEP_2) | instskip(NEXT) | instid1(VALU_DEP_2)
	v_and_b32_e32 v39, 0xffff, v39
	v_and_b32_e32 v51, 0xffff, v51
	s_delay_alu instid0(VALU_DEP_2)
	v_lshlrev_b32_e32 v47, 4, v39
	s_clause 0x2
	global_load_b128 v[39:42], v47, s[8:9] offset:288
	global_load_b128 v[43:46], v47, s[8:9] offset:304
	global_load_b128 v[47:50], v47, s[8:9] offset:320
	v_lshlrev_b32_e32 v59, 4, v51
	s_clause 0x2
	global_load_b128 v[51:54], v59, s[8:9] offset:288
	global_load_b128 v[55:58], v59, s[8:9] offset:304
	;; [unrolled: 1-line block ×3, first 2 shown]
	ds_load_b128 v[63:66], v10
	ds_load_b128 v[67:70], v21 offset:28672
	ds_load_b128 v[71:74], v21 offset:24576
	;; [unrolled: 1-line block ×3, first 2 shown]
	s_waitcnt vmcnt(8) lgkmcnt(3)
	v_mul_f64 v[79:80], v[65:66], v[29:30]
	v_mul_f64 v[29:30], v[63:64], v[29:30]
	s_waitcnt vmcnt(7) lgkmcnt(1)
	v_mul_f64 v[81:82], v[73:74], v[33:34]
	v_mul_f64 v[33:34], v[71:72], v[33:34]
	s_delay_alu instid0(VALU_DEP_4) | instskip(NEXT) | instid1(VALU_DEP_4)
	v_fma_f64 v[79:80], v[63:64], v[27:28], v[79:80]
	v_fma_f64 v[83:84], v[65:66], v[27:28], -v[29:30]
	ds_load_b128 v[27:30], v21 offset:36864
	ds_load_b128 v[63:66], v21 offset:32768
	v_fma_f64 v[71:72], v[71:72], v[31:32], v[81:82]
	v_fma_f64 v[73:74], v[73:74], v[31:32], -v[33:34]
	ds_load_b128 v[31:34], v21 offset:16384
	s_waitcnt vmcnt(6) lgkmcnt(2)
	v_mul_f64 v[85:86], v[29:30], v[37:38]
	v_mul_f64 v[37:38], v[27:28], v[37:38]
	s_delay_alu instid0(VALU_DEP_2) | instskip(NEXT) | instid1(VALU_DEP_2)
	v_fma_f64 v[81:82], v[27:28], v[35:36], v[85:86]
	v_fma_f64 v[85:86], v[29:30], v[35:36], -v[37:38]
	ds_load_b128 v[27:30], v21 offset:8192
	s_waitcnt vmcnt(5) lgkmcnt(1)
	v_mul_f64 v[35:36], v[33:34], v[41:42]
	v_mul_f64 v[37:38], v[31:32], v[41:42]
	s_waitcnt vmcnt(4)
	v_mul_f64 v[41:42], v[69:70], v[45:46]
	s_delay_alu instid0(VALU_DEP_3) | instskip(SKIP_1) | instid1(VALU_DEP_4)
	v_fma_f64 v[87:88], v[31:32], v[39:40], v[35:36]
	v_mul_f64 v[35:36], v[67:68], v[45:46]
	v_fma_f64 v[39:40], v[33:34], v[39:40], -v[37:38]
	ds_load_b128 v[31:34], v21 offset:40960
	v_fma_f64 v[41:42], v[67:68], v[43:44], v[41:42]
	s_waitcnt vmcnt(2)
	v_mul_f64 v[67:68], v[77:78], v[53:54]
	v_fma_f64 v[43:44], v[69:70], v[43:44], -v[35:36]
	ds_load_b128 v[35:38], v21 offset:45056
	s_waitcnt lgkmcnt(1)
	v_mul_f64 v[45:46], v[33:34], v[49:50]
	v_mul_f64 v[49:50], v[31:32], v[49:50]
	s_delay_alu instid0(VALU_DEP_2) | instskip(SKIP_1) | instid1(VALU_DEP_3)
	v_fma_f64 v[45:46], v[31:32], v[47:48], v[45:46]
	v_mul_f64 v[31:32], v[75:76], v[53:54]
	v_fma_f64 v[47:48], v[33:34], v[47:48], -v[49:50]
	s_waitcnt vmcnt(1)
	v_mul_f64 v[33:34], v[65:66], v[57:58]
	v_mul_f64 v[49:50], v[63:64], v[57:58]
	s_waitcnt vmcnt(0) lgkmcnt(0)
	v_mul_f64 v[53:54], v[37:38], v[61:62]
	v_fma_f64 v[57:58], v[75:76], v[51:52], v[67:68]
	v_add_f64 v[67:68], v[83:84], -v[85:86]
	v_fma_f64 v[51:52], v[77:78], v[51:52], -v[31:32]
	v_mul_f64 v[31:32], v[35:36], v[61:62]
	v_fma_f64 v[61:62], v[63:64], v[55:56], v[33:34]
	v_fma_f64 v[49:50], v[65:66], v[55:56], -v[49:50]
	v_fma_f64 v[53:54], v[35:36], v[59:60], v[53:54]
	v_add_f64 v[65:66], v[79:80], -v[81:82]
	v_fma_f64 v[55:56], v[37:38], v[59:60], -v[31:32]
	ds_load_b128 v[31:34], v21
	ds_load_b128 v[35:38], v21 offset:4096
	v_add_f64 v[75:76], v[29:30], -v[49:50]
	v_fma_f64 v[49:50], v[83:84], 2.0, -v[67:68]
	s_waitcnt lgkmcnt(0)
	s_barrier
	buffer_gl0_inv
	v_add_f64 v[59:60], v[31:32], -v[71:72]
	v_add_f64 v[63:64], v[33:34], -v[73:74]
	;; [unrolled: 1-line block ×9, first 2 shown]
	v_fma_f64 v[85:86], v[29:30], 2.0, -v[75:76]
	v_fma_f64 v[61:62], v[31:32], 2.0, -v[59:60]
	;; [unrolled: 1-line block ×10, first 2 shown]
	v_add_f64 v[27:28], v[59:60], v[67:68]
	v_add_f64 v[29:30], v[63:64], -v[65:66]
	v_add_f64 v[31:32], v[69:70], v[41:42]
	v_add_f64 v[45:46], v[75:76], -v[45:46]
	v_fma_f64 v[51:52], v[51:52], 2.0, -v[47:48]
	v_add_f64 v[37:38], v[77:78], -v[49:50]
	v_add_f64 v[35:36], v[61:62], -v[33:34]
	;; [unrolled: 1-line block ×3, first 2 shown]
	v_add_f64 v[43:44], v[73:74], v[47:48]
	v_add_f64 v[39:40], v[79:80], -v[53:54]
	v_add_f64 v[41:42], v[81:82], -v[55:56]
	;; [unrolled: 1-line block ×3, first 2 shown]
	v_fma_f64 v[53:54], v[63:64], 2.0, -v[29:30]
	v_fma_f64 v[55:56], v[69:70], 2.0, -v[31:32]
	;; [unrolled: 1-line block ×3, first 2 shown]
	v_mul_lo_u16 v75, 0x60, v22
	v_mul_lo_u16 v76, 0x60, v91
	v_lshrrev_b32_e32 v91, 22, v24
	v_and_b32_e32 v22, 0xffff, v22
	v_add_f64 v[49:50], v[85:86], -v[51:52]
	v_fma_f64 v[51:52], v[59:60], 2.0, -v[27:28]
	v_sub_nc_u16 v0, v0, v75
	v_mul_lo_u16 v75, 0x60, v89
	v_or_b32_e32 v76, v76, v92
	v_lshrrev_b32_e32 v89, 22, v23
	v_mul_u32_u24_e32 v22, 0x180, v22
	v_and_b32_e32 v0, 0xff, v0
	v_or_b32_e32 v75, v75, v90
	v_and_b32_e32 v76, 0xffff, v76
	v_mul_lo_u16 v23, 0x60, v89
	s_delay_alu instid0(VALU_DEP_4) | instskip(NEXT) | instid1(VALU_DEP_4)
	v_mul_u32_u24_e32 v26, 3, v0
	v_and_b32_e32 v75, 0xffff, v75
	v_or_b32_e32 v0, v22, v0
	s_delay_alu instid0(VALU_DEP_4) | instskip(NEXT) | instid1(VALU_DEP_2)
	v_sub_nc_u16 v90, v11, v23
	v_lshl_add_u32 v0, v0, 4, 0
	s_delay_alu instid0(VALU_DEP_2)
	v_mul_lo_u16 v23, v90, 3
	v_fma_f64 v[59:60], v[61:62], 2.0, -v[35:36]
	v_fma_f64 v[61:62], v[77:78], 2.0, -v[37:38]
	;; [unrolled: 1-line block ×7, first 2 shown]
	v_lshlrev_b32_e32 v77, 4, v26
	v_lshl_add_u32 v26, v75, 4, 0
	v_lshl_add_u32 v75, v76, 4, 0
	v_and_b32_e32 v23, 0xffff, v23
	s_delay_alu instid0(VALU_DEP_1)
	v_lshlrev_b32_e32 v23, 4, v23
	v_fma_f64 v[73:74], v[85:86], 2.0, -v[49:50]
	ds_store_b128 v25, v[35:38] offset:768
	ds_store_b128 v25, v[27:30] offset:1152
	ds_store_b128 v25, v[59:62]
	ds_store_b128 v25, v[51:54] offset:384
	ds_store_b128 v26, v[63:66]
	ds_store_b128 v26, v[55:58] offset:384
	ds_store_b128 v26, v[39:42] offset:768
	;; [unrolled: 1-line block ×3, first 2 shown]
	ds_store_b128 v75, v[71:74]
	ds_store_b128 v75, v[67:70] offset:384
	ds_store_b128 v75, v[47:50] offset:768
	;; [unrolled: 1-line block ×3, first 2 shown]
	s_waitcnt lgkmcnt(0)
	s_barrier
	buffer_gl0_inv
	s_clause 0x5
	global_load_b128 v[25:28], v77, s[8:9] offset:1440
	global_load_b128 v[29:32], v77, s[8:9] offset:1456
	;; [unrolled: 1-line block ×6, first 2 shown]
	v_mul_lo_u16 v23, 0x60, v91
	s_delay_alu instid0(VALU_DEP_1) | instskip(NEXT) | instid1(VALU_DEP_1)
	v_sub_nc_u16 v19, v19, v23
	v_mul_lo_u16 v23, v19, 3
	s_delay_alu instid0(VALU_DEP_1) | instskip(NEXT) | instid1(VALU_DEP_1)
	v_and_b32_e32 v23, 0xffff, v23
	v_lshlrev_b32_e32 v23, 4, v23
	s_clause 0x2
	global_load_b128 v[49:52], v23, s[8:9] offset:1440
	global_load_b128 v[53:56], v23, s[8:9] offset:1456
	;; [unrolled: 1-line block ×3, first 2 shown]
	ds_load_b128 v[61:64], v10
	ds_load_b128 v[65:68], v21 offset:28672
	ds_load_b128 v[69:72], v21 offset:24576
	;; [unrolled: 1-line block ×5, first 2 shown]
	s_waitcnt vmcnt(8) lgkmcnt(5)
	v_mul_f64 v[23:24], v[63:64], v[27:28]
	v_mul_f64 v[27:28], v[61:62], v[27:28]
	s_waitcnt vmcnt(7) lgkmcnt(3)
	v_mul_f64 v[85:86], v[71:72], v[31:32]
	v_mul_f64 v[31:32], v[69:70], v[31:32]
	;; [unrolled: 3-line block ×3, first 2 shown]
	v_fma_f64 v[61:62], v[61:62], v[25:26], v[23:24]
	v_fma_f64 v[63:64], v[63:64], v[25:26], -v[27:28]
	ds_load_b128 v[23:26], v21 offset:16384
	v_fma_f64 v[69:70], v[69:70], v[29:30], v[85:86]
	v_fma_f64 v[71:72], v[71:72], v[29:30], -v[31:32]
	ds_load_b128 v[27:30], v21 offset:8192
	;; [unrolled: 3-line block ×3, first 2 shown]
	s_waitcnt vmcnt(4)
	v_mul_f64 v[79:80], v[67:68], v[43:44]
	v_mul_f64 v[43:44], v[65:66], v[43:44]
	s_waitcnt lgkmcnt(2)
	v_mul_f64 v[85:86], v[25:26], v[39:40]
	v_mul_f64 v[39:40], v[23:24], v[39:40]
	v_add_f64 v[35:36], v[63:64], -v[35:36]
	v_fma_f64 v[65:66], v[65:66], v[41:42], v[79:80]
	v_fma_f64 v[41:42], v[67:68], v[41:42], -v[43:44]
	s_waitcnt vmcnt(2)
	v_mul_f64 v[43:44], v[75:76], v[51:52]
	v_mul_f64 v[51:52], v[73:74], v[51:52]
	s_waitcnt vmcnt(1)
	v_mul_f64 v[67:68], v[83:84], v[55:56]
	v_mul_f64 v[55:56], v[81:82], v[55:56]
	v_fma_f64 v[85:86], v[23:24], v[37:38], v[85:86]
	v_fma_f64 v[37:38], v[25:26], v[37:38], -v[39:40]
	ds_load_b128 v[23:26], v21 offset:45056
	s_waitcnt lgkmcnt(1)
	v_mul_f64 v[39:40], v[33:34], v[47:48]
	v_mul_f64 v[47:48], v[31:32], v[47:48]
	v_fma_f64 v[43:44], v[73:74], v[49:50], v[43:44]
	s_delay_alu instid0(VALU_DEP_3) | instskip(NEXT) | instid1(VALU_DEP_3)
	v_fma_f64 v[39:40], v[31:32], v[45:46], v[39:40]
	v_fma_f64 v[45:46], v[33:34], v[45:46], -v[47:48]
	s_waitcnt vmcnt(0) lgkmcnt(0)
	v_mul_f64 v[31:32], v[25:26], v[59:60]
	v_mul_f64 v[33:34], v[23:24], v[59:60]
	v_fma_f64 v[47:48], v[75:76], v[49:50], -v[51:52]
	v_fma_f64 v[49:50], v[81:82], v[53:54], v[67:68]
	v_fma_f64 v[51:52], v[83:84], v[53:54], -v[55:56]
	v_add_f64 v[67:68], v[61:62], -v[77:78]
	v_add_f64 v[39:40], v[85:86], -v[39:40]
	v_fma_f64 v[53:54], v[23:24], v[57:58], v[31:32]
	v_fma_f64 v[55:56], v[25:26], v[57:58], -v[33:34]
	ds_load_b128 v[23:26], v21
	ds_load_b128 v[31:34], v21 offset:4096
	s_waitcnt lgkmcnt(0)
	v_add_f64 v[73:74], v[29:30], -v[51:52]
	v_fma_f64 v[51:52], v[61:62], 2.0, -v[67:68]
	s_barrier
	buffer_gl0_inv
	v_add_f64 v[57:58], v[23:24], -v[69:70]
	v_add_f64 v[59:60], v[25:26], -v[71:72]
	;; [unrolled: 1-line block ×6, first 2 shown]
	v_fma_f64 v[77:78], v[85:86], 2.0, -v[39:40]
	v_add_f64 v[49:50], v[43:44], -v[53:54]
	v_add_f64 v[45:46], v[47:48], -v[55:56]
	v_fma_f64 v[55:56], v[63:64], 2.0, -v[35:36]
	v_fma_f64 v[81:82], v[29:30], 2.0, -v[73:74]
	;; [unrolled: 1-line block ×8, first 2 shown]
	v_add_f64 v[23:24], v[57:58], v[35:36]
	v_add_f64 v[25:26], v[59:60], -v[67:68]
	v_add_f64 v[27:28], v[65:66], v[41:42]
	v_add_f64 v[29:30], v[69:70], -v[39:40]
	v_fma_f64 v[43:44], v[43:44], 2.0, -v[49:50]
	v_fma_f64 v[47:48], v[47:48], 2.0, -v[45:46]
	v_add_f64 v[39:40], v[71:72], v[45:46]
	v_add_f64 v[41:42], v[73:74], -v[49:50]
	v_add_f64 v[31:32], v[53:54], -v[51:52]
	;; [unrolled: 1-line block ×5, first 2 shown]
	v_fma_f64 v[49:50], v[59:60], 2.0, -v[25:26]
	v_fma_f64 v[51:52], v[65:66], 2.0, -v[27:28]
	v_add_f64 v[43:44], v[79:80], -v[43:44]
	v_add_f64 v[45:46], v[81:82], -v[47:48]
	v_fma_f64 v[47:48], v[57:58], 2.0, -v[23:24]
	v_fma_f64 v[65:66], v[73:74], 2.0, -v[41:42]
	v_mul_lo_u16 v73, 0x180, v91
	s_delay_alu instid0(VALU_DEP_1) | instskip(NEXT) | instid1(VALU_DEP_1)
	v_or_b32_e32 v19, v73, v19
	v_and_b32_e32 v19, 0xffff, v19
	s_delay_alu instid0(VALU_DEP_1)
	v_lshl_add_u32 v19, v19, 4, 0
	v_fma_f64 v[55:56], v[53:54], 2.0, -v[31:32]
	v_fma_f64 v[57:58], v[75:76], 2.0, -v[33:34]
	;; [unrolled: 1-line block ×6, first 2 shown]
	v_mul_u32_u24_e32 v71, 3, v9
	v_mul_lo_u16 v72, 0x180, v89
	s_delay_alu instid0(VALU_DEP_2) | instskip(NEXT) | instid1(VALU_DEP_2)
	v_lshlrev_b32_e32 v71, 4, v71
	v_or_b32_e32 v72, v72, v90
	s_delay_alu instid0(VALU_DEP_2) | instskip(SKIP_3) | instid1(VALU_DEP_4)
	v_add_co_u32 v73, s0, s8, v71
	v_fma_f64 v[67:68], v[79:80], 2.0, -v[43:44]
	v_fma_f64 v[69:70], v[81:82], 2.0, -v[45:46]
	v_add_co_ci_u32_e64 v74, null, s9, 0, s0
	v_add_co_u32 v71, s0, 0x1000, v73
	v_and_b32_e32 v22, 0xffff, v72
	s_delay_alu instid0(VALU_DEP_3) | instskip(NEXT) | instid1(VALU_DEP_2)
	v_add_co_ci_u32_e64 v72, s0, 0, v74, s0
	v_lshl_add_u32 v22, v22, 4, 0
	ds_store_b128 v0, v[31:34] offset:3072
	ds_store_b128 v0, v[23:26] offset:4608
	ds_store_b128 v0, v[55:58]
	ds_store_b128 v0, v[47:50] offset:1536
	ds_store_b128 v22, v[59:62]
	ds_store_b128 v22, v[51:54] offset:1536
	ds_store_b128 v22, v[35:38] offset:3072
	;; [unrolled: 1-line block ×3, first 2 shown]
	ds_store_b128 v19, v[67:70]
	ds_store_b128 v19, v[63:66] offset:1536
	ds_store_b128 v19, v[43:46] offset:3072
	;; [unrolled: 1-line block ×3, first 2 shown]
	s_waitcnt lgkmcnt(0)
	s_barrier
	buffer_gl0_inv
	global_load_b128 v[22:25], v[71:72], off offset:1952
	v_add_co_u32 v30, s0, 0x17a0, v73
	s_delay_alu instid0(VALU_DEP_1)
	v_add_co_ci_u32_e64 v31, s0, 0, v74, s0
	v_add_nc_u32_e32 v0, 0xffffff80, v9
	v_cmp_gt_u32_e64 s0, 0x180, v11
	v_mov_b32_e32 v35, v12
	global_load_b128 v[26:29], v[30:31], off offset:16
	v_cndmask_b32_e64 v0, v0, v11, s0
	s_delay_alu instid0(VALU_DEP_1) | instskip(NEXT) | instid1(VALU_DEP_1)
	v_mul_i32_i24_e32 v34, 3, v0
	v_lshlrev_b64 v[34:35], 4, v[34:35]
	s_delay_alu instid0(VALU_DEP_1) | instskip(NEXT) | instid1(VALU_DEP_1)
	v_add_co_u32 v19, s0, s8, v34
	v_add_co_ci_u32_e64 v38, s0, s9, v35, s0
	s_delay_alu instid0(VALU_DEP_2) | instskip(NEXT) | instid1(VALU_DEP_1)
	v_add_co_u32 v34, s0, 0x1000, v19
	v_add_co_ci_u32_e64 v35, s0, 0, v38, s0
	v_add_co_u32 v42, s0, 0x17a0, v19
	s_delay_alu instid0(VALU_DEP_1)
	v_add_co_ci_u32_e64 v43, s0, 0, v38, s0
	s_clause 0x1
	global_load_b128 v[34:37], v[34:35], off offset:1952
	global_load_b128 v[30:33], v[30:31], off offset:32
	v_add_co_u32 v46, s0, 0x2000, v73
	global_load_b128 v[38:41], v[42:43], off offset:16
	v_add_co_ci_u32_e64 v47, s0, 0, v74, s0
	global_load_b128 v[42:45], v[42:43], off offset:32
	v_add_co_u32 v54, s0, 0x2fa0, v73
	s_delay_alu instid0(VALU_DEP_1)
	v_add_co_ci_u32_e64 v55, s0, 0, v74, s0
	s_clause 0x2
	global_load_b128 v[46:49], v[46:47], off offset:4000
	global_load_b128 v[50:53], v[54:55], off offset:16
	;; [unrolled: 1-line block ×3, first 2 shown]
	ds_load_b128 v[58:61], v10
	ds_load_b128 v[62:65], v21 offset:28672
	ds_load_b128 v[66:69], v21 offset:24576
	;; [unrolled: 1-line block ×5, first 2 shown]
	v_add_co_u32 v13, s0, s8, v13
	s_delay_alu instid0(VALU_DEP_1) | instskip(SKIP_1) | instid1(VALU_DEP_1)
	v_add_co_ci_u32_e64 v14, s0, s9, v14, s0
	v_cmp_lt_u32_e64 s0, 0x17f, v11
	v_cndmask_b32_e64 v11, 0, 0x600, s0
	s_delay_alu instid0(VALU_DEP_1) | instskip(NEXT) | instid1(VALU_DEP_1)
	v_or_b32_e32 v0, v11, v0
	v_lshl_add_u32 v0, v0, 4, 0
	s_waitcnt vmcnt(8) lgkmcnt(5)
	v_mul_f64 v[82:83], v[60:61], v[24:25]
	v_mul_f64 v[24:25], v[58:59], v[24:25]
	s_waitcnt vmcnt(7) lgkmcnt(3)
	v_mul_f64 v[84:85], v[68:69], v[28:29]
	v_mul_f64 v[28:29], v[66:67], v[28:29]
	s_delay_alu instid0(VALU_DEP_4) | instskip(NEXT) | instid1(VALU_DEP_4)
	v_fma_f64 v[82:83], v[58:59], v[22:23], v[82:83]
	v_fma_f64 v[88:89], v[60:61], v[22:23], -v[24:25]
	ds_load_b128 v[22:25], v21 offset:16384
	ds_load_b128 v[58:61], v21 offset:8192
	s_waitcnt vmcnt(5) lgkmcnt(4)
	v_mul_f64 v[86:87], v[72:73], v[32:33]
	v_mul_f64 v[32:33], v[70:71], v[32:33]
	v_fma_f64 v[66:67], v[66:67], v[26:27], v[84:85]
	s_waitcnt vmcnt(4)
	v_mul_f64 v[84:85], v[64:65], v[40:41]
	v_mul_f64 v[40:41], v[62:63], v[40:41]
	v_fma_f64 v[68:69], v[68:69], v[26:27], -v[28:29]
	s_waitcnt lgkmcnt(1)
	v_mul_f64 v[90:91], v[24:25], v[36:37]
	v_mul_f64 v[36:37], v[22:23], v[36:37]
	v_fma_f64 v[70:71], v[70:71], v[30:31], v[86:87]
	v_fma_f64 v[72:73], v[72:73], v[30:31], -v[32:33]
	ds_load_b128 v[26:29], v21 offset:40960
	ds_load_b128 v[30:33], v21 offset:45056
	v_fma_f64 v[90:91], v[22:23], v[34:35], v[90:91]
	v_fma_f64 v[34:35], v[24:25], v[34:35], -v[36:37]
	s_waitcnt vmcnt(2)
	v_mul_f64 v[24:25], v[76:77], v[48:49]
	s_waitcnt lgkmcnt(1)
	v_mul_f64 v[86:87], v[28:29], v[44:45]
	v_mul_f64 v[22:23], v[26:27], v[44:45]
	;; [unrolled: 1-line block ×3, first 2 shown]
	s_waitcnt vmcnt(1)
	v_mul_f64 v[44:45], v[80:81], v[52:53]
	v_fma_f64 v[48:49], v[62:63], v[38:39], v[84:85]
	v_fma_f64 v[38:39], v[64:65], v[38:39], -v[40:41]
	v_mul_f64 v[40:41], v[78:79], v[52:53]
	s_waitcnt vmcnt(0) lgkmcnt(0)
	v_mul_f64 v[52:53], v[32:33], v[56:57]
	v_mul_f64 v[56:57], v[30:31], v[56:57]
	v_fma_f64 v[64:65], v[74:75], v[46:47], v[24:25]
	v_fma_f64 v[62:63], v[26:27], v[42:43], v[86:87]
	v_fma_f64 v[42:43], v[28:29], v[42:43], -v[22:23]
	v_fma_f64 v[36:37], v[76:77], v[46:47], -v[36:37]
	v_fma_f64 v[44:45], v[78:79], v[50:51], v[44:45]
	ds_load_b128 v[22:25], v21
	ds_load_b128 v[26:29], v21 offset:4096
	s_waitcnt lgkmcnt(0)
	v_fma_f64 v[40:41], v[80:81], v[50:51], -v[40:41]
	v_fma_f64 v[30:31], v[30:31], v[54:55], v[52:53]
	v_fma_f64 v[32:33], v[32:33], v[54:55], -v[56:57]
	v_add_f64 v[52:53], v[82:83], -v[70:71]
	v_add_f64 v[54:55], v[88:89], -v[72:73]
	s_barrier
	buffer_gl0_inv
	v_add_f64 v[46:47], v[22:23], -v[66:67]
	v_add_f64 v[50:51], v[24:25], -v[68:69]
	;; [unrolled: 1-line block ×10, first 2 shown]
	v_fma_f64 v[30:31], v[82:83], 2.0, -v[52:53]
	v_fma_f64 v[32:33], v[88:89], 2.0, -v[54:55]
	;; [unrolled: 1-line block ×6, first 2 shown]
	v_add_f64 v[24:25], v[50:51], -v[52:53]
	v_add_f64 v[22:23], v[46:47], v[54:55]
	v_fma_f64 v[28:29], v[90:91], 2.0, -v[38:39]
	v_fma_f64 v[76:77], v[34:35], 2.0, -v[42:43]
	v_add_f64 v[26:27], v[48:49], v[42:43]
	v_fma_f64 v[78:79], v[58:59], 2.0, -v[62:63]
	v_fma_f64 v[80:81], v[60:61], 2.0, -v[68:69]
	v_fma_f64 v[58:59], v[64:65], 2.0, -v[40:41]
	v_fma_f64 v[60:61], v[36:37], 2.0, -v[44:45]
	v_add_f64 v[40:41], v[68:69], -v[40:41]
	v_add_f64 v[30:31], v[56:57], -v[30:31]
	;; [unrolled: 1-line block ×6, first 2 shown]
	v_add_f64 v[38:39], v[62:63], v[44:45]
	v_add_co_u32 v76, s0, 0x5000, v13
	s_delay_alu instid0(VALU_DEP_1) | instskip(SKIP_3) | instid1(VALU_DEP_1)
	v_add_co_ci_u32_e64 v77, s0, 0, v14, s0
	v_add_f64 v[42:43], v[78:79], -v[58:59]
	v_add_f64 v[44:45], v[80:81], -v[60:61]
	v_add_co_u32 v13, s0, s8, v20
	v_add_co_ci_u32_e64 v14, null, s9, 0, s0
	v_fma_f64 v[60:61], v[68:69], 2.0, -v[40:41]
	s_delay_alu instid0(VALU_DEP_3) | instskip(NEXT) | instid1(VALU_DEP_1)
	v_add_co_u32 v82, s0, 0x5000, v13
	v_add_co_ci_u32_e64 v83, s0, 0, v14, s0
	v_add_co_u32 v11, s0, s8, v15
	s_delay_alu instid0(VALU_DEP_1)
	v_add_co_ci_u32_e64 v20, s0, s9, v16, s0
	v_fma_f64 v[15:16], v[50:51], 2.0, -v[24:25]
	v_fma_f64 v[50:51], v[56:57], 2.0, -v[30:31]
	;; [unrolled: 1-line block ×5, first 2 shown]
	v_add_co_u32 v19, s0, 0x5000, v11
	s_delay_alu instid0(VALU_DEP_1) | instskip(SKIP_1) | instid1(VALU_DEP_1)
	v_add_co_ci_u32_e64 v20, s0, 0, v20, s0
	v_add_co_u32 v11, s0, s8, v17
	v_add_co_ci_u32_e64 v18, s0, s9, v18, s0
	v_add_co_u32 v1, s0, s8, v1
	v_fma_f64 v[54:55], v[72:73], 2.0, -v[34:35]
	v_fma_f64 v[56:57], v[74:75], 2.0, -v[36:37]
	v_fma_f64 v[48:49], v[66:67], 2.0, -v[28:29]
	v_fma_f64 v[58:59], v[62:63], 2.0, -v[38:39]
	v_add_co_ci_u32_e64 v2, s0, s9, v2, s0
	v_add_co_u32 v68, s0, s8, v3
	v_fma_f64 v[62:63], v[78:79], 2.0, -v[42:43]
	v_fma_f64 v[64:65], v[80:81], 2.0, -v[44:45]
	v_add_co_ci_u32_e64 v4, s0, s9, v4, s0
	v_add_co_u32 v17, s0, 0x5000, v11
	s_delay_alu instid0(VALU_DEP_1) | instskip(SKIP_1) | instid1(VALU_DEP_1)
	v_add_co_ci_u32_e64 v18, s0, 0, v18, s0
	v_add_co_u32 v66, s0, 0x5000, v1
	v_add_co_ci_u32_e64 v67, s0, 0, v2, s0
	ds_store_b128 v21, v[30:33] offset:12288
	ds_store_b128 v21, v[22:25] offset:18432
	ds_store_b128 v21, v[50:53]
	ds_store_b128 v21, v[13:16] offset:6144
	ds_store_b128 v0, v[54:57]
	ds_store_b128 v0, v[46:49] offset:6144
	ds_store_b128 v0, v[34:37] offset:12288
	;; [unrolled: 1-line block ×7, first 2 shown]
	s_waitcnt lgkmcnt(0)
	s_barrier
	buffer_gl0_inv
	s_clause 0x2
	global_load_b128 v[0:3], v[76:77], off offset:4000
	global_load_b128 v[13:16], v[19:20], off offset:4000
	;; [unrolled: 1-line block ×3, first 2 shown]
	v_add_co_u32 v30, s0, 0x5000, v68
	s_delay_alu instid0(VALU_DEP_1)
	v_add_co_ci_u32_e64 v31, s0, 0, v4, s0
	s_clause 0x2
	global_load_b128 v[22:25], v[82:83], off offset:4000
	global_load_b128 v[26:29], v[66:67], off offset:4000
	;; [unrolled: 1-line block ×3, first 2 shown]
	ds_load_b128 v[34:37], v21 offset:24576
	ds_load_b128 v[38:41], v21 offset:28672
	ds_load_b128 v[42:45], v21 offset:32768
	ds_load_b128 v[46:49], v21 offset:36864
	ds_load_b128 v[50:53], v21 offset:40960
	ds_load_b128 v[54:57], v21 offset:45056
	ds_load_b128 v[58:61], v10
	ds_load_b128 v[62:65], v21 offset:20480
	s_waitcnt vmcnt(5) lgkmcnt(7)
	v_mul_f64 v[66:67], v[36:37], v[2:3]
	s_waitcnt vmcnt(4) lgkmcnt(6)
	v_mul_f64 v[68:69], v[40:41], v[15:16]
	v_mul_f64 v[15:16], v[38:39], v[15:16]
	;; [unrolled: 1-line block ×3, first 2 shown]
	s_waitcnt vmcnt(3) lgkmcnt(5)
	v_mul_f64 v[70:71], v[44:45], v[19:20]
	v_mul_f64 v[19:20], v[42:43], v[19:20]
	s_waitcnt vmcnt(2) lgkmcnt(4)
	v_mul_f64 v[72:73], v[48:49], v[24:25]
	v_mul_f64 v[24:25], v[46:47], v[24:25]
	;; [unrolled: 3-line block ×4, first 2 shown]
	v_fma_f64 v[34:35], v[34:35], v[0:1], v[66:67]
	v_fma_f64 v[38:39], v[38:39], v[13:14], v[68:69]
	v_fma_f64 v[40:41], v[40:41], v[13:14], -v[15:16]
	v_fma_f64 v[36:37], v[36:37], v[0:1], -v[2:3]
	v_fma_f64 v[42:43], v[42:43], v[17:18], v[70:71]
	v_fma_f64 v[44:45], v[44:45], v[17:18], -v[19:20]
	v_fma_f64 v[46:47], v[46:47], v[22:23], v[72:73]
	;; [unrolled: 2-line block ×4, first 2 shown]
	v_fma_f64 v[56:57], v[56:57], v[30:31], -v[32:33]
	ds_load_b128 v[0:3], v21
	ds_load_b128 v[13:16], v21 offset:4096
	ds_load_b128 v[17:20], v21 offset:8192
	;; [unrolled: 1-line block ×3, first 2 shown]
	s_waitcnt lgkmcnt(0)
	s_barrier
	buffer_gl0_inv
	v_add_f64 v[26:27], v[0:1], -v[34:35]
	v_add_f64 v[30:31], v[13:14], -v[38:39]
	v_add_f64 v[32:33], v[15:16], -v[40:41]
	v_add_f64 v[28:29], v[2:3], -v[36:37]
	v_add_f64 v[34:35], v[17:18], -v[42:43]
	v_add_f64 v[36:37], v[19:20], -v[44:45]
	v_add_f64 v[38:39], v[58:59], -v[46:47]
	v_add_f64 v[40:41], v[60:61], -v[48:49]
	v_add_f64 v[42:43], v[22:23], -v[50:51]
	v_add_f64 v[44:45], v[24:25], -v[52:53]
	v_add_f64 v[46:47], v[62:63], -v[54:55]
	v_add_f64 v[48:49], v[64:65], -v[56:57]
	v_fma_f64 v[0:1], v[0:1], 2.0, -v[26:27]
	v_fma_f64 v[13:14], v[13:14], 2.0, -v[30:31]
	v_fma_f64 v[15:16], v[15:16], 2.0, -v[32:33]
	v_fma_f64 v[2:3], v[2:3], 2.0, -v[28:29]
	v_fma_f64 v[17:18], v[17:18], 2.0, -v[34:35]
	v_fma_f64 v[19:20], v[19:20], 2.0, -v[36:37]
	v_fma_f64 v[50:51], v[58:59], 2.0, -v[38:39]
	v_fma_f64 v[52:53], v[60:61], 2.0, -v[40:41]
	v_fma_f64 v[22:23], v[22:23], 2.0, -v[42:43]
	v_fma_f64 v[24:25], v[24:25], 2.0, -v[44:45]
	v_fma_f64 v[54:55], v[62:63], 2.0, -v[46:47]
	v_fma_f64 v[56:57], v[64:65], 2.0, -v[48:49]
	ds_store_b128 v21, v[26:29] offset:24576
	ds_store_b128 v21, v[30:33] offset:28672
	;; [unrolled: 1-line block ×4, first 2 shown]
	ds_store_b128 v21, v[0:3]
	ds_store_b128 v21, v[34:37] offset:32768
	ds_store_b128 v10, v[50:53]
	ds_store_b128 v10, v[38:41] offset:24576
	ds_store_b128 v21, v[22:25] offset:16384
	;; [unrolled: 1-line block ×5, first 2 shown]
	s_waitcnt lgkmcnt(0)
	s_barrier
	buffer_gl0_inv
	s_and_saveexec_b32 s0, vcc_lo
	s_cbranch_execz .LBB0_21
; %bb.20:
	v_mul_lo_u32 v2, s3, v7
	v_mul_lo_u32 v3, s2, v8
	v_mad_u64_u32 v[0:1], null, s2, v7, 0
	v_lshl_add_u32 v8, v9, 4, 0
	v_dual_mov_b32 v10, v12 :: v_dual_add_nc_u32 v11, 0x100, v9
	v_lshlrev_b64 v[13:14], 4, v[5:6]
	s_delay_alu instid0(VALU_DEP_4) | instskip(NEXT) | instid1(VALU_DEP_3)
	v_add3_u32 v1, v1, v3, v2
	v_lshlrev_b64 v[17:18], 4, v[9:10]
	s_delay_alu instid0(VALU_DEP_2)
	v_lshlrev_b64 v[15:16], 4, v[0:1]
	ds_load_b128 v[0:3], v8
	ds_load_b128 v[4:7], v8 offset:4096
	v_add_co_u32 v10, vcc_lo, s6, v15
	v_add_co_ci_u32_e32 v19, vcc_lo, s7, v16, vcc_lo
	v_lshlrev_b64 v[15:16], 4, v[11:12]
	s_delay_alu instid0(VALU_DEP_3) | instskip(NEXT) | instid1(VALU_DEP_3)
	v_add_co_u32 v39, vcc_lo, v10, v13
	v_add_co_ci_u32_e32 v40, vcc_lo, v19, v14, vcc_lo
	v_add_nc_u32_e32 v11, 0x200, v9
	s_delay_alu instid0(VALU_DEP_3) | instskip(NEXT) | instid1(VALU_DEP_3)
	v_add_co_u32 v13, vcc_lo, v39, v17
	v_add_co_ci_u32_e32 v14, vcc_lo, v40, v18, vcc_lo
	s_delay_alu instid0(VALU_DEP_3) | instskip(SKIP_3) | instid1(VALU_DEP_4)
	v_lshlrev_b64 v[17:18], 4, v[11:12]
	v_add_co_u32 v15, vcc_lo, v39, v15
	v_add_co_ci_u32_e32 v16, vcc_lo, v40, v16, vcc_lo
	v_add_nc_u32_e32 v11, 0x300, v9
	v_add_co_u32 v23, vcc_lo, v39, v17
	s_waitcnt lgkmcnt(1)
	global_store_b128 v[13:14], v[0:3], off
	s_waitcnt lgkmcnt(0)
	global_store_b128 v[15:16], v[4:7], off
	v_add_co_ci_u32_e32 v24, vcc_lo, v40, v18, vcc_lo
	v_lshlrev_b64 v[21:22], 4, v[11:12]
	v_add_nc_u32_e32 v11, 0x400, v9
	ds_load_b128 v[0:3], v8 offset:8192
	ds_load_b128 v[4:7], v8 offset:12288
	;; [unrolled: 1-line block ×4, first 2 shown]
	v_lshlrev_b64 v[25:26], 4, v[11:12]
	v_add_nc_u32_e32 v11, 0x500, v9
	v_add_co_u32 v21, vcc_lo, v39, v21
	v_add_co_ci_u32_e32 v22, vcc_lo, v40, v22, vcc_lo
	s_delay_alu instid0(VALU_DEP_3) | instskip(SKIP_3) | instid1(VALU_DEP_3)
	v_lshlrev_b64 v[27:28], 4, v[11:12]
	v_add_nc_u32_e32 v11, 0x600, v9
	v_add_co_u32 v25, vcc_lo, v39, v25
	v_add_co_ci_u32_e32 v26, vcc_lo, v40, v26, vcc_lo
	v_lshlrev_b64 v[29:30], 4, v[11:12]
	v_add_nc_u32_e32 v11, 0x700, v9
	v_add_co_u32 v27, vcc_lo, v39, v27
	v_add_co_ci_u32_e32 v28, vcc_lo, v40, v28, vcc_lo
	s_waitcnt lgkmcnt(3)
	global_store_b128 v[23:24], v[0:3], off
	s_waitcnt lgkmcnt(2)
	global_store_b128 v[21:22], v[4:7], off
	;; [unrolled: 2-line block ×4, first 2 shown]
	v_lshlrev_b64 v[13:14], 4, v[11:12]
	v_add_nc_u32_e32 v11, 0x800, v9
	v_add_co_u32 v29, vcc_lo, v39, v29
	v_add_co_ci_u32_e32 v30, vcc_lo, v40, v30, vcc_lo
	s_delay_alu instid0(VALU_DEP_3) | instskip(SKIP_3) | instid1(VALU_DEP_4)
	v_lshlrev_b64 v[15:16], 4, v[11:12]
	v_add_co_u32 v31, vcc_lo, v39, v13
	v_add_nc_u32_e32 v11, 0x900, v9
	v_add_co_ci_u32_e32 v32, vcc_lo, v40, v14, vcc_lo
	v_add_co_u32 v35, vcc_lo, v39, v15
	ds_load_b128 v[0:3], v8 offset:24576
	ds_load_b128 v[4:7], v8 offset:28672
	v_add_co_ci_u32_e32 v36, vcc_lo, v40, v16, vcc_lo
	ds_load_b128 v[13:16], v8 offset:32768
	ds_load_b128 v[17:20], v8 offset:36864
	;; [unrolled: 1-line block ×4, first 2 shown]
	v_lshlrev_b64 v[33:34], 4, v[11:12]
	v_add_nc_u32_e32 v11, 0xa00, v9
	s_delay_alu instid0(VALU_DEP_1) | instskip(SKIP_1) | instid1(VALU_DEP_4)
	v_lshlrev_b64 v[37:38], 4, v[11:12]
	v_add_nc_u32_e32 v11, 0xb00, v9
	v_add_co_u32 v8, vcc_lo, v39, v33
	v_add_co_ci_u32_e32 v9, vcc_lo, v40, v34, vcc_lo
	s_delay_alu instid0(VALU_DEP_3) | instskip(SKIP_2) | instid1(VALU_DEP_3)
	v_lshlrev_b64 v[10:11], 4, v[11:12]
	v_add_co_u32 v33, vcc_lo, v39, v37
	v_add_co_ci_u32_e32 v34, vcc_lo, v40, v38, vcc_lo
	v_add_co_u32 v10, vcc_lo, v39, v10
	s_delay_alu instid0(VALU_DEP_4)
	v_add_co_ci_u32_e32 v11, vcc_lo, v40, v11, vcc_lo
	s_waitcnt lgkmcnt(5)
	global_store_b128 v[29:30], v[0:3], off
	s_waitcnt lgkmcnt(4)
	global_store_b128 v[31:32], v[4:7], off
	;; [unrolled: 2-line block ×6, first 2 shown]
.LBB0_21:
	s_nop 0
	s_sendmsg sendmsg(MSG_DEALLOC_VGPRS)
	s_endpgm
	.section	.rodata,"a",@progbits
	.p2align	6, 0x0
	.amdhsa_kernel fft_rtc_back_len3072_factors_6_4_4_4_4_2_wgs_256_tpt_256_halfLds_dp_op_CI_CI_unitstride_sbrr_C2R_dirReg
		.amdhsa_group_segment_fixed_size 0
		.amdhsa_private_segment_fixed_size 0
		.amdhsa_kernarg_size 104
		.amdhsa_user_sgpr_count 15
		.amdhsa_user_sgpr_dispatch_ptr 0
		.amdhsa_user_sgpr_queue_ptr 0
		.amdhsa_user_sgpr_kernarg_segment_ptr 1
		.amdhsa_user_sgpr_dispatch_id 0
		.amdhsa_user_sgpr_private_segment_size 0
		.amdhsa_wavefront_size32 1
		.amdhsa_uses_dynamic_stack 0
		.amdhsa_enable_private_segment 0
		.amdhsa_system_sgpr_workgroup_id_x 1
		.amdhsa_system_sgpr_workgroup_id_y 0
		.amdhsa_system_sgpr_workgroup_id_z 0
		.amdhsa_system_sgpr_workgroup_info 0
		.amdhsa_system_vgpr_workitem_id 0
		.amdhsa_next_free_vgpr 102
		.amdhsa_next_free_sgpr 27
		.amdhsa_reserve_vcc 1
		.amdhsa_float_round_mode_32 0
		.amdhsa_float_round_mode_16_64 0
		.amdhsa_float_denorm_mode_32 3
		.amdhsa_float_denorm_mode_16_64 3
		.amdhsa_dx10_clamp 1
		.amdhsa_ieee_mode 1
		.amdhsa_fp16_overflow 0
		.amdhsa_workgroup_processor_mode 1
		.amdhsa_memory_ordered 1
		.amdhsa_forward_progress 0
		.amdhsa_shared_vgpr_count 0
		.amdhsa_exception_fp_ieee_invalid_op 0
		.amdhsa_exception_fp_denorm_src 0
		.amdhsa_exception_fp_ieee_div_zero 0
		.amdhsa_exception_fp_ieee_overflow 0
		.amdhsa_exception_fp_ieee_underflow 0
		.amdhsa_exception_fp_ieee_inexact 0
		.amdhsa_exception_int_div_zero 0
	.end_amdhsa_kernel
	.text
.Lfunc_end0:
	.size	fft_rtc_back_len3072_factors_6_4_4_4_4_2_wgs_256_tpt_256_halfLds_dp_op_CI_CI_unitstride_sbrr_C2R_dirReg, .Lfunc_end0-fft_rtc_back_len3072_factors_6_4_4_4_4_2_wgs_256_tpt_256_halfLds_dp_op_CI_CI_unitstride_sbrr_C2R_dirReg
                                        ; -- End function
	.section	.AMDGPU.csdata,"",@progbits
; Kernel info:
; codeLenInByte = 11284
; NumSgprs: 29
; NumVgprs: 102
; ScratchSize: 0
; MemoryBound: 0
; FloatMode: 240
; IeeeMode: 1
; LDSByteSize: 0 bytes/workgroup (compile time only)
; SGPRBlocks: 3
; VGPRBlocks: 12
; NumSGPRsForWavesPerEU: 29
; NumVGPRsForWavesPerEU: 102
; Occupancy: 12
; WaveLimiterHint : 1
; COMPUTE_PGM_RSRC2:SCRATCH_EN: 0
; COMPUTE_PGM_RSRC2:USER_SGPR: 15
; COMPUTE_PGM_RSRC2:TRAP_HANDLER: 0
; COMPUTE_PGM_RSRC2:TGID_X_EN: 1
; COMPUTE_PGM_RSRC2:TGID_Y_EN: 0
; COMPUTE_PGM_RSRC2:TGID_Z_EN: 0
; COMPUTE_PGM_RSRC2:TIDIG_COMP_CNT: 0
	.text
	.p2alignl 7, 3214868480
	.fill 96, 4, 3214868480
	.type	__hip_cuid_2f94bb9c9704b59,@object ; @__hip_cuid_2f94bb9c9704b59
	.section	.bss,"aw",@nobits
	.globl	__hip_cuid_2f94bb9c9704b59
__hip_cuid_2f94bb9c9704b59:
	.byte	0                               ; 0x0
	.size	__hip_cuid_2f94bb9c9704b59, 1

	.ident	"AMD clang version 19.0.0git (https://github.com/RadeonOpenCompute/llvm-project roc-6.4.0 25133 c7fe45cf4b819c5991fe208aaa96edf142730f1d)"
	.section	".note.GNU-stack","",@progbits
	.addrsig
	.addrsig_sym __hip_cuid_2f94bb9c9704b59
	.amdgpu_metadata
---
amdhsa.kernels:
  - .args:
      - .actual_access:  read_only
        .address_space:  global
        .offset:         0
        .size:           8
        .value_kind:     global_buffer
      - .offset:         8
        .size:           8
        .value_kind:     by_value
      - .actual_access:  read_only
        .address_space:  global
        .offset:         16
        .size:           8
        .value_kind:     global_buffer
      - .actual_access:  read_only
        .address_space:  global
        .offset:         24
        .size:           8
        .value_kind:     global_buffer
      - .actual_access:  read_only
        .address_space:  global
        .offset:         32
        .size:           8
        .value_kind:     global_buffer
      - .offset:         40
        .size:           8
        .value_kind:     by_value
      - .actual_access:  read_only
        .address_space:  global
        .offset:         48
        .size:           8
        .value_kind:     global_buffer
      - .actual_access:  read_only
        .address_space:  global
        .offset:         56
        .size:           8
        .value_kind:     global_buffer
      - .offset:         64
        .size:           4
        .value_kind:     by_value
      - .actual_access:  read_only
        .address_space:  global
        .offset:         72
        .size:           8
        .value_kind:     global_buffer
      - .actual_access:  read_only
        .address_space:  global
        .offset:         80
        .size:           8
        .value_kind:     global_buffer
      - .actual_access:  read_only
        .address_space:  global
        .offset:         88
        .size:           8
        .value_kind:     global_buffer
      - .actual_access:  write_only
        .address_space:  global
        .offset:         96
        .size:           8
        .value_kind:     global_buffer
    .group_segment_fixed_size: 0
    .kernarg_segment_align: 8
    .kernarg_segment_size: 104
    .language:       OpenCL C
    .language_version:
      - 2
      - 0
    .max_flat_workgroup_size: 256
    .name:           fft_rtc_back_len3072_factors_6_4_4_4_4_2_wgs_256_tpt_256_halfLds_dp_op_CI_CI_unitstride_sbrr_C2R_dirReg
    .private_segment_fixed_size: 0
    .sgpr_count:     29
    .sgpr_spill_count: 0
    .symbol:         fft_rtc_back_len3072_factors_6_4_4_4_4_2_wgs_256_tpt_256_halfLds_dp_op_CI_CI_unitstride_sbrr_C2R_dirReg.kd
    .uniform_work_group_size: 1
    .uses_dynamic_stack: false
    .vgpr_count:     102
    .vgpr_spill_count: 0
    .wavefront_size: 32
    .workgroup_processor_mode: 1
amdhsa.target:   amdgcn-amd-amdhsa--gfx1100
amdhsa.version:
  - 1
  - 2
...

	.end_amdgpu_metadata
